;; amdgpu-corpus repo=ROCm/rocFFT kind=compiled arch=gfx1201 opt=O3
	.text
	.amdgcn_target "amdgcn-amd-amdhsa--gfx1201"
	.amdhsa_code_object_version 6
	.protected	bluestein_single_back_len121_dim1_sp_op_CI_CI ; -- Begin function bluestein_single_back_len121_dim1_sp_op_CI_CI
	.globl	bluestein_single_back_len121_dim1_sp_op_CI_CI
	.p2align	8
	.type	bluestein_single_back_len121_dim1_sp_op_CI_CI,@function
bluestein_single_back_len121_dim1_sp_op_CI_CI: ; @bluestein_single_back_len121_dim1_sp_op_CI_CI
; %bb.0:
	s_load_b128 s[12:15], s[0:1], 0x28
	v_mul_u32_u24_e32 v1, 0x1746, v0
	s_mov_b32 s2, exec_lo
	s_delay_alu instid0(VALU_DEP_1) | instskip(NEXT) | instid1(VALU_DEP_1)
	v_lshrrev_b32_e32 v1, 16, v1
	v_mad_co_u64_u32 v[40:41], null, ttmp9, 11, v[1:2]
	v_mov_b32_e32 v41, 0
	s_wait_kmcnt 0x0
	s_delay_alu instid0(VALU_DEP_1)
	v_cmpx_gt_u64_e64 s[12:13], v[40:41]
	s_cbranch_execz .LBB0_2
; %bb.1:
	s_clause 0x1
	s_load_b128 s[4:7], s[0:1], 0x18
	s_load_b128 s[8:11], s[0:1], 0x0
	v_mul_lo_u16 v1, v1, 11
	s_delay_alu instid0(VALU_DEP_1) | instskip(NEXT) | instid1(VALU_DEP_1)
	v_sub_nc_u16 v4, v0, v1
	v_and_b32_e32 v65, 0xffff, v4
	s_delay_alu instid0(VALU_DEP_1)
	v_lshlrev_b32_e32 v68, 3, v65
	s_wait_kmcnt 0x0
	s_load_b128 s[16:19], s[4:5], 0x0
	s_clause 0x8
	global_load_b64 v[61:62], v68, s[8:9]
	global_load_b64 v[59:60], v68, s[8:9] offset:88
	global_load_b64 v[57:58], v68, s[8:9] offset:176
	;; [unrolled: 1-line block ×8, first 2 shown]
	s_wait_kmcnt 0x0
	v_mad_co_u64_u32 v[0:1], null, s18, v40, 0
	v_mad_co_u64_u32 v[2:3], null, s16, v65, 0
	s_mul_u64 s[2:3], s[16:17], 0x58
	s_delay_alu instid0(VALU_DEP_1) | instskip(NEXT) | instid1(VALU_DEP_2)
	v_mad_co_u64_u32 v[5:6], null, s19, v40, v[1:2]
	v_mad_co_u64_u32 v[6:7], null, s17, v65, v[3:4]
	s_delay_alu instid0(VALU_DEP_2) | instskip(NEXT) | instid1(VALU_DEP_2)
	v_mov_b32_e32 v1, v5
	v_mov_b32_e32 v3, v6
	s_delay_alu instid0(VALU_DEP_2) | instskip(NEXT) | instid1(VALU_DEP_2)
	v_lshlrev_b64_e32 v[0:1], 3, v[0:1]
	v_lshlrev_b64_e32 v[2:3], 3, v[2:3]
	s_delay_alu instid0(VALU_DEP_2) | instskip(NEXT) | instid1(VALU_DEP_3)
	v_add_co_u32 v0, vcc_lo, s14, v0
	v_add_co_ci_u32_e32 v1, vcc_lo, s15, v1, vcc_lo
	s_delay_alu instid0(VALU_DEP_2) | instskip(SKIP_1) | instid1(VALU_DEP_2)
	v_add_co_u32 v0, vcc_lo, v0, v2
	s_wait_alu 0xfffd
	v_add_co_ci_u32_e32 v1, vcc_lo, v1, v3, vcc_lo
	s_delay_alu instid0(VALU_DEP_2) | instskip(SKIP_1) | instid1(VALU_DEP_2)
	v_add_co_u32 v2, vcc_lo, v0, s2
	s_wait_alu 0xfffd
	v_add_co_ci_u32_e32 v3, vcc_lo, s3, v1, vcc_lo
	global_load_b64 v[0:1], v[0:1], off
	v_add_co_u32 v5, vcc_lo, v2, s2
	s_wait_alu 0xfffd
	v_add_co_ci_u32_e32 v6, vcc_lo, s3, v3, vcc_lo
	global_load_b64 v[2:3], v[2:3], off
	v_add_co_u32 v7, vcc_lo, v5, s2
	s_wait_alu 0xfffd
	v_add_co_ci_u32_e32 v8, vcc_lo, s3, v6, vcc_lo
	s_delay_alu instid0(VALU_DEP_2) | instskip(SKIP_1) | instid1(VALU_DEP_2)
	v_add_co_u32 v9, vcc_lo, v7, s2
	s_wait_alu 0xfffd
	v_add_co_ci_u32_e32 v10, vcc_lo, s3, v8, vcc_lo
	s_clause 0x2
	global_load_b64 v[5:6], v[5:6], off
	global_load_b64 v[7:8], v[7:8], off
	;; [unrolled: 1-line block ×3, first 2 shown]
	v_add_co_u32 v11, vcc_lo, v9, s2
	s_wait_alu 0xfffd
	v_add_co_ci_u32_e32 v12, vcc_lo, s3, v10, vcc_lo
	s_delay_alu instid0(VALU_DEP_2) | instskip(SKIP_1) | instid1(VALU_DEP_2)
	v_add_co_u32 v9, vcc_lo, v11, s2
	s_wait_alu 0xfffd
	v_add_co_ci_u32_e32 v10, vcc_lo, s3, v12, vcc_lo
	global_load_b64 v[11:12], v[11:12], off
	v_add_co_u32 v15, vcc_lo, v9, s2
	s_wait_alu 0xfffd
	v_add_co_ci_u32_e32 v16, vcc_lo, s3, v10, vcc_lo
	global_load_b64 v[17:18], v[9:10], off
	v_add_co_u32 v9, vcc_lo, v15, s2
	s_wait_alu 0xfffd
	v_add_co_ci_u32_e32 v10, vcc_lo, s3, v16, vcc_lo
	global_load_b64 v[15:16], v[15:16], off
	v_add_co_u32 v19, vcc_lo, v9, s2
	s_wait_alu 0xfffd
	v_add_co_ci_u32_e32 v20, vcc_lo, s3, v10, vcc_lo
	global_load_b64 v[21:22], v[9:10], off
	v_add_co_u32 v9, vcc_lo, v19, s2
	s_wait_alu 0xfffd
	v_add_co_ci_u32_e32 v10, vcc_lo, s3, v20, vcc_lo
	global_load_b64 v[19:20], v[19:20], off
	s_clause 0x1
	global_load_b64 v[49:50], v68, s[8:9] offset:792
	global_load_b64 v[51:52], v68, s[8:9] offset:880
	global_load_b64 v[23:24], v[9:10], off
	v_mul_hi_u32 v9, 0xba2e8ba3, v40
	s_load_b128 s[4:7], s[6:7], 0x0
	s_add_nc_u64 s[2:3], s[8:9], 0x3c8
	s_delay_alu instid0(VALU_DEP_1) | instskip(NEXT) | instid1(VALU_DEP_1)
	v_lshrrev_b32_e32 v9, 3, v9
	v_mul_lo_u32 v9, v9, 11
	s_delay_alu instid0(VALU_DEP_1) | instskip(NEXT) | instid1(VALU_DEP_1)
	v_sub_nc_u32_e32 v9, v40, v9
	v_mul_u32_u24_e32 v9, 0x79, v9
	s_delay_alu instid0(VALU_DEP_1) | instskip(NEXT) | instid1(VALU_DEP_1)
	v_lshlrev_b32_e32 v10, 3, v9
	v_add_nc_u32_e32 v66, v68, v10
	s_wait_loadcnt 0xc
	v_mul_f32_e32 v25, v1, v62
	v_mul_f32_e32 v9, v0, v62
	s_wait_loadcnt 0xb
	v_mul_f32_e32 v27, v3, v60
	v_mul_f32_e32 v28, v2, v60
	s_delay_alu instid0(VALU_DEP_2) | instskip(NEXT) | instid1(VALU_DEP_2)
	v_fmac_f32_e32 v27, v2, v59
	v_fma_f32 v28, v3, v59, -v28
	s_wait_loadcnt 0x9
	v_mul_f32_e32 v2, v8, v48
	v_dual_fmac_f32 v25, v0, v61 :: v_dual_mul_f32 v0, v6, v58
	v_mul_f32_e32 v3, v7, v48
	s_delay_alu instid0(VALU_DEP_3) | instskip(NEXT) | instid1(VALU_DEP_3)
	v_fmac_f32_e32 v2, v7, v47
	v_fmac_f32_e32 v0, v5, v57
	v_fma_f32 v26, v1, v61, -v9
	v_mul_f32_e32 v1, v5, v58
	s_wait_loadcnt 0x8
	v_mul_f32_e32 v5, v14, v56
	s_wait_loadcnt 0x7
	v_mul_f32_e32 v7, v12, v54
	v_fma_f32 v3, v8, v47, -v3
	v_mul_f32_e32 v8, v11, v54
	v_fma_f32 v1, v6, v57, -v1
	s_delay_alu instid0(VALU_DEP_4)
	v_dual_mul_f32 v6, v13, v56 :: v_dual_fmac_f32 v7, v11, v53
	s_wait_loadcnt 0x6
	v_mul_f32_e32 v11, v18, v46
	v_fmac_f32_e32 v5, v13, v55
	v_mul_f32_e32 v9, v17, v46
	v_fma_f32 v6, v14, v55, -v6
	s_wait_loadcnt 0x5
	v_mul_f32_e32 v13, v16, v44
	v_dual_mul_f32 v14, v15, v44 :: v_dual_fmac_f32 v11, v17, v45
	v_fma_f32 v8, v12, v53, -v8
	v_fma_f32 v12, v18, v45, -v9
	s_wait_loadcnt 0x4
	v_mul_f32_e32 v17, v22, v42
	v_fmac_f32_e32 v13, v15, v43
	v_fma_f32 v14, v16, v43, -v14
	v_mul_f32_e32 v9, v21, v42
	s_wait_loadcnt 0x2
	v_mul_f32_e32 v15, v20, v50
	v_mul_f32_e32 v16, v19, v50
	ds_store_2addr_b64 v66, v[25:26], v[27:28] offset1:11
	v_fmac_f32_e32 v17, v21, v41
	s_wait_loadcnt 0x0
	v_mul_f32_e32 v21, v24, v52
	v_mul_f32_e32 v25, v23, v52
	v_fma_f32 v18, v22, v41, -v9
	v_fmac_f32_e32 v15, v19, v49
	v_fma_f32 v16, v20, v49, -v16
	v_fmac_f32_e32 v21, v23, v51
	v_fma_f32 v22, v24, v51, -v25
	ds_store_2addr_b64 v66, v[0:1], v[2:3] offset0:22 offset1:33
	ds_store_2addr_b64 v66, v[5:6], v[7:8] offset0:44 offset1:55
	;; [unrolled: 1-line block ×4, first 2 shown]
	ds_store_b64 v66, v[21:22] offset:880
	global_wb scope:SCOPE_SE
	s_wait_dscnt 0x0
	s_wait_kmcnt 0x0
	s_barrier_signal -1
	s_barrier_wait -1
	global_inv scope:SCOPE_SE
	ds_load_2addr_b64 v[0:3], v66 offset1:11
	ds_load_b64 v[8:9], v66 offset:880
	v_mul_lo_u16 v15, v4, 11
	ds_load_2addr_b64 v[11:14], v66 offset0:22 offset1:33
	ds_load_2addr_b64 v[4:7], v66 offset0:88 offset1:99
	v_mul_u32_u24_e32 v16, 10, v65
	v_and_b32_e32 v23, 0xffff, v15
	s_delay_alu instid0(VALU_DEP_2)
	v_lshlrev_b32_e32 v24, 3, v16
	ds_load_2addr_b64 v[15:18], v66 offset0:44 offset1:55
	ds_load_2addr_b64 v[19:22], v66 offset0:66 offset1:77
	global_wb scope:SCOPE_SE
	s_wait_dscnt 0x0
	v_lshl_add_u32 v67, v23, 3, v10
	s_barrier_signal -1
	s_barrier_wait -1
	global_inv scope:SCOPE_SE
	v_add_f32_e32 v10, v0, v2
	v_add_f32_e32 v26, v9, v3
	v_sub_f32_e32 v30, v12, v7
	v_add_f32_e32 v23, v1, v3
	v_sub_f32_e32 v3, v3, v9
	v_sub_f32_e32 v34, v14, v5
	v_add_f32_e32 v10, v10, v11
	v_mul_f32_e32 v78, 0xbf4178ce, v30
	s_delay_alu instid0(VALU_DEP_4)
	v_dual_add_f32 v25, v8, v2 :: v_dual_mul_f32 v72, 0xbf7d64f0, v3
	v_sub_f32_e32 v2, v2, v8
	v_dual_add_f32 v27, v6, v11 :: v_dual_mul_f32 v80, 0x3e903f40, v30
	v_dual_sub_f32 v29, v11, v6 :: v_dual_mul_f32 v74, 0xbf4178ce, v3
	v_dual_add_f32 v31, v4, v13 :: v_dual_mul_f32 v82, 0x3f7d64f0, v30
	v_sub_f32_e32 v33, v13, v4
	v_dual_sub_f32 v37, v15, v21 :: v_dual_mul_f32 v86, 0x3e903f40, v34
	v_sub_f32_e32 v38, v16, v22
	v_dual_sub_f32 v64, v17, v19 :: v_dual_sub_f32 v69, v18, v20
	v_mul_f32_e32 v90, 0xbf0a6770, v34
	v_mul_f32_e32 v70, 0xbf68dda4, v3
	;; [unrolled: 1-line block ×3, first 2 shown]
	s_delay_alu instid0(VALU_DEP_4)
	v_dual_mul_f32 v75, 0xbf4178ce, v2 :: v_dual_mul_f32 v102, 0xbf4178ce, v69
	v_dual_mul_f32 v76, 0xbf68dda4, v30 :: v_dual_add_f32 v11, v23, v12
	v_dual_mul_f32 v23, 0xbf0a6770, v2 :: v_dual_mul_f32 v98, 0xbf0a6770, v37
	v_add_f32_e32 v10, v10, v13
	v_add_f32_e32 v28, v7, v12
	;; [unrolled: 1-line block ×3, first 2 shown]
	v_dual_add_f32 v35, v21, v15 :: v_dual_mul_f32 v84, 0xbf7d64f0, v34
	v_dual_add_f32 v39, v19, v17 :: v_dual_mul_f32 v88, 0x3f68dda4, v34
	v_mul_f32_e32 v12, 0xbf0a6770, v3
	v_dual_mul_f32 v79, 0xbf4178ce, v29 :: v_dual_mul_f32 v92, 0xbf4178ce, v38
	v_mul_f32_e32 v30, 0x3f0a6770, v30
	v_mul_f32_e32 v89, 0x3f68dda4, v33
	v_dual_mul_f32 v91, 0xbf0a6770, v33 :: v_dual_mul_f32 v94, 0xbf0a6770, v38
	v_mul_f32_e32 v34, 0xbf4178ce, v34
	v_dual_mul_f32 v95, 0xbe903f40, v38 :: v_dual_mul_f32 v104, 0xbe903f40, v64
	v_dual_mul_f32 v97, 0x3f7d64f0, v37 :: v_dual_add_f32 v10, v10, v15
	v_mul_f32_e32 v106, 0xbf4178ce, v64
	v_mul_f32_e32 v107, 0x3f68dda4, v64
	v_dual_add_f32 v11, v11, v14 :: v_dual_fmamk_f32 v14, v26, 0x3f575c64, v23
	v_mul_f32_e32 v77, 0xbf68dda4, v29
	v_fma_f32 v108, 0x3ed4b147, v25, -v70
	v_mul_f32_e32 v81, 0x3e903f40, v29
	v_fmac_f32_e32 v70, 0x3ed4b147, v25
	v_mul_f32_e32 v83, 0x3f7d64f0, v29
	v_fma_f32 v110, 0xbe11bafb, v25, -v72
	v_fmac_f32_e32 v72, 0xbe11bafb, v25
	v_mul_f32_e32 v85, 0xbf7d64f0, v33
	v_fma_f32 v112, 0xbf27a4f4, v25, -v74
	v_dual_fmamk_f32 v113, v26, 0xbf27a4f4, v75 :: v_dual_fmac_f32 v74, 0xbf27a4f4, v25
	v_mul_f32_e32 v87, 0x3e903f40, v33
	v_mul_f32_e32 v33, 0xbf4178ce, v33
	;; [unrolled: 1-line block ×4, first 2 shown]
	v_fmamk_f32 v111, v26, 0xbe11bafb, v73
	v_fma_f32 v120, 0xbe11bafb, v27, -v82
	v_fmac_f32_e32 v82, 0xbe11bafb, v27
	v_mul_f32_e32 v29, 0x3f0a6770, v29
	v_dual_mul_f32 v3, 0xbe903f40, v3 :: v_dual_mul_f32 v100, 0xbe903f40, v69
	v_fma_f32 v13, 0x3f575c64, v25, -v12
	s_delay_alu instid0(VALU_DEP_3)
	v_dual_fmac_f32 v12, 0x3f575c64, v25 :: v_dual_fmamk_f32 v123, v28, 0x3f575c64, v29
	v_dual_mul_f32 v71, 0xbf68dda4, v2 :: v_dual_add_f32 v36, v22, v16
	v_dual_add_f32 v63, v20, v18 :: v_dual_mul_f32 v96, 0xbf4178ce, v37
	v_fma_f32 v114, 0xbf75a155, v25, -v3
	v_fmac_f32_e32 v3, 0xbf75a155, v25
	v_fma_f32 v25, 0x3ed4b147, v27, -v76
	v_fmac_f32_e32 v76, 0x3ed4b147, v27
	;; [unrolled: 2-line block ×3, first 2 shown]
	v_dual_mul_f32 v99, 0xbe903f40, v37 :: v_dual_add_f32 v12, v0, v12
	v_mul_f32_e32 v37, 0x3f68dda4, v37
	v_fmamk_f32 v109, v26, 0x3ed4b147, v71
	v_fma_f32 v71, 0x3ed4b147, v26, -v71
	v_mul_f32_e32 v2, 0xbe903f40, v2
	v_mul_f32_e32 v93, 0x3f7d64f0, v38
	;; [unrolled: 1-line block ×3, first 2 shown]
	v_fma_f32 v73, 0xbe11bafb, v26, -v73
	v_fma_f32 v116, 0xbf27a4f4, v27, -v78
	v_mul_f32_e32 v101, 0x3f0a6770, v69
	v_dual_fmamk_f32 v117, v28, 0xbf27a4f4, v79 :: v_dual_fmac_f32 v78, 0xbf27a4f4, v27
	v_mul_f32_e32 v103, 0x3f68dda4, v69
	v_fma_f32 v79, 0xbf27a4f4, v28, -v79
	v_add_f32_e32 v71, v1, v71
	v_dual_mul_f32 v69, 0xbf7d64f0, v69 :: v_dual_add_f32 v12, v76, v12
	v_fmamk_f32 v138, v36, 0x3ed4b147, v37
	v_fma_f32 v23, 0x3f575c64, v26, -v23
	v_fma_f32 v75, 0xbf27a4f4, v26, -v75
	v_fmamk_f32 v119, v28, 0xbf75a155, v81
	v_fma_f32 v81, 0xbf75a155, v28, -v81
	v_fma_f32 v122, 0x3f575c64, v27, -v30
	v_dual_fmac_f32 v30, 0x3f575c64, v27 :: v_dual_fmamk_f32 v129, v32, 0x3f575c64, v91
	v_fma_f32 v27, 0x3f575c64, v28, -v29
	v_fma_f32 v124, 0xbf75a155, v31, -v86
	v_fmac_f32_e32 v86, 0xbf75a155, v31
	v_fma_f32 v126, 0x3ed4b147, v31, -v88
	v_dual_fmamk_f32 v127, v32, 0x3ed4b147, v89 :: v_dual_fmac_f32 v88, 0x3ed4b147, v31
	v_fmamk_f32 v145, v63, 0x3ed4b147, v107
	v_fma_f32 v89, 0x3ed4b147, v32, -v89
	v_fma_f32 v128, 0x3f575c64, v31, -v90
	v_dual_fmac_f32 v90, 0x3f575c64, v31 :: v_dual_fmamk_f32 v143, v63, 0x3f575c64, v105
	v_fma_f32 v91, 0x3f575c64, v32, -v91
	v_fma_f32 v130, 0xbf27a4f4, v31, -v34
	v_fmac_f32_e32 v34, 0xbf27a4f4, v31
	v_fma_f32 v131, 0xbe11bafb, v35, -v93
	v_dual_fmac_f32 v93, 0xbe11bafb, v35 :: v_dual_fmamk_f32 v146, v63, 0xbe11bafb, v64
	v_fma_f32 v132, 0x3f575c64, v35, -v94
	v_dual_fmac_f32 v94, 0x3f575c64, v35 :: v_dual_add_f32 v13, v0, v13
	v_fmamk_f32 v115, v26, 0xbf75a155, v2
	v_fma_f32 v2, 0xbf75a155, v26, -v2
	v_fma_f32 v133, 0xbf75a155, v35, -v95
	;; [unrolled: 1-line block ×3, first 2 shown]
	v_dual_fmac_f32 v38, 0x3ed4b147, v35 :: v_dual_add_f32 v73, v1, v73
	v_fmamk_f32 v136, v36, 0x3f575c64, v98
	v_fma_f32 v98, 0x3f575c64, v36, -v98
	v_fmamk_f32 v137, v36, 0xbf75a155, v99
	v_fma_f32 v99, 0xbf75a155, v36, -v99
	v_fma_f32 v139, 0x3f575c64, v39, -v101
	v_fmac_f32_e32 v101, 0x3f575c64, v39
	v_fma_f32 v140, 0xbf27a4f4, v39, -v102
	v_fmac_f32_e32 v102, 0xbf27a4f4, v39
	;; [unrolled: 2-line block ×3, first 2 shown]
	v_fma_f32 v142, 0xbe11bafb, v39, -v69
	v_fma_f32 v105, 0x3f575c64, v63, -v105
	v_dual_fmamk_f32 v144, v63, 0xbf27a4f4, v106 :: v_dual_add_f32 v75, v1, v75
	v_fma_f32 v106, 0xbf27a4f4, v63, -v106
	v_fma_f32 v107, 0x3ed4b147, v63, -v107
	v_add_f32_e32 v14, v1, v14
	v_dual_fmamk_f32 v26, v28, 0x3ed4b147, v77 :: v_dual_add_f32 v23, v1, v23
	v_fma_f32 v77, 0x3ed4b147, v28, -v77
	v_add_f32_e32 v70, v0, v70
	v_fmamk_f32 v121, v28, 0xbe11bafb, v83
	v_fma_f32 v83, 0xbe11bafb, v28, -v83
	v_fma_f32 v28, 0xbe11bafb, v31, -v84
	v_fmac_f32_e32 v84, 0xbe11bafb, v31
	v_fmamk_f32 v31, v32, 0xbf27a4f4, v33
	v_dual_fmac_f32 v69, 0xbe11bafb, v39 :: v_dual_add_f32 v72, v0, v72
	v_fmamk_f32 v29, v32, 0xbe11bafb, v85
	v_fma_f32 v85, 0xbe11bafb, v32, -v85
	v_dual_fmac_f32 v95, 0xbf75a155, v35 :: v_dual_add_f32 v74, v0, v74
	v_fmamk_f32 v125, v32, 0xbf75a155, v87
	v_fma_f32 v87, 0xbf75a155, v32, -v87
	v_fma_f32 v32, 0xbf27a4f4, v32, -v33
	;; [unrolled: 1-line block ×3, first 2 shown]
	v_fmac_f32_e32 v92, 0xbf27a4f4, v35
	v_fmamk_f32 v35, v36, 0xbf27a4f4, v96
	v_fma_f32 v96, 0xbf27a4f4, v36, -v96
	v_fmamk_f32 v135, v36, 0xbe11bafb, v97
	v_fma_f32 v97, 0xbe11bafb, v36, -v97
	v_fma_f32 v36, 0x3ed4b147, v36, -v37
	;; [unrolled: 1-line block ×3, first 2 shown]
	v_fmac_f32_e32 v100, 0xbf75a155, v39
	v_fmamk_f32 v39, v63, 0xbf75a155, v104
	v_fma_f32 v104, 0xbf75a155, v63, -v104
	v_fma_f32 v63, 0xbe11bafb, v63, -v64
	v_add_f32_e32 v64, v0, v108
	v_dual_add_f32 v108, v1, v109 :: v_dual_add_f32 v11, v11, v16
	v_dual_add_f32 v109, v0, v110 :: v_dual_add_f32 v110, v1, v111
	;; [unrolled: 1-line block ×5, first 2 shown]
	v_add_f32_e32 v113, v0, v114
	v_add_f32_e32 v0, v0, v3
	v_dual_add_f32 v16, v117, v108 :: v_dual_add_f32 v3, v11, v18
	v_dual_add_f32 v11, v26, v14 :: v_dual_add_f32 v12, v92, v12
	v_add_f32_e32 v14, v116, v64
	v_add_f32_e32 v10, v25, v13
	;; [unrolled: 1-line block ×8, first 2 shown]
	v_dual_add_f32 v13, v77, v23 :: v_dual_add_f32 v18, v87, v18
	v_add_f32_e32 v64, v81, v73
	v_dual_add_f32 v74, v122, v113 :: v_dual_add_f32 v71, v121, v112
	s_delay_alu instid0(VALU_DEP_4)
	v_dual_add_f32 v15, v123, v15 :: v_dual_add_f32 v2, v2, v21
	v_dual_add_f32 v0, v30, v0 :: v_dual_add_f32 v73, v83, v75
	;; [unrolled: 1-line block ×3, first 2 shown]
	v_add_f32_e32 v14, v131, v14
	v_dual_add_f32 v16, v125, v16 :: v_dual_add_f32 v17, v78, v70
	v_dual_add_f32 v70, v120, v111 :: v_dual_add_f32 v23, v118, v109
	;; [unrolled: 1-line block ×3, first 2 shown]
	v_add_f32_e32 v28, v90, v72
	v_add_f32_e32 v20, v127, v25
	v_dual_add_f32 v1, v27, v1 :: v_dual_add_f32 v10, v33, v10
	v_dual_add_f32 v30, v130, v74 :: v_dual_add_f32 v25, v89, v64
	;; [unrolled: 1-line block ×3, first 2 shown]
	v_add_f32_e32 v29, v91, v73
	s_delay_alu instid0(VALU_DEP_4)
	v_add_f32_e32 v1, v32, v1
	v_add_f32_e32 v3, v3, v22
	;; [unrolled: 1-line block ×3, first 2 shown]
	v_dual_add_f32 v31, v2, v4 :: v_dual_add_f32 v4, v139, v14
	v_add_f32_e32 v19, v126, v23
	v_dual_add_f32 v23, v88, v26 :: v_dual_add_f32 v22, v98, v25
	v_dual_add_f32 v26, v128, v70 :: v_dual_add_f32 v13, v85, v13
	v_add_f32_e32 v20, v136, v20
	v_add_f32_e32 v16, v135, v16
	v_dual_add_f32 v32, v3, v5 :: v_dual_add_f32 v25, v137, v27
	v_add_f32_e32 v27, v99, v29
	v_add_f32_e32 v29, v38, v0
	;; [unrolled: 1-line block ×4, first 2 shown]
	v_dual_add_f32 v17, v86, v17 :: v_dual_add_f32 v26, v95, v28
	v_add_f32_e32 v13, v96, v13
	s_delay_alu instid0(VALU_DEP_3)
	v_dual_add_f32 v5, v143, v16 :: v_dual_add_f32 v16, v141, v23
	v_dual_add_f32 v23, v31, v6 :: v_dual_add_f32 v6, v69, v29
	;; [unrolled: 1-line block ×3, first 2 shown]
	v_add_f32_e32 v28, v134, v30
	v_add_f32_e32 v30, v36, v1
	;; [unrolled: 1-line block ×3, first 2 shown]
	s_delay_alu instid0(VALU_DEP_4)
	v_add_f32_e32 v1, v39, v11
	v_add_f32_e32 v11, v105, v18
	v_dual_add_f32 v18, v103, v26 :: v_dual_add_f32 v17, v93, v17
	v_add_f32_e32 v2, v100, v12
	v_add_f32_e32 v12, v140, v19
	v_dual_add_f32 v15, v138, v15 :: v_dual_add_f32 v0, v37, v10
	s_delay_alu instid0(VALU_DEP_4)
	v_add_f32_e32 v10, v101, v17
	v_dual_add_f32 v8, v23, v8 :: v_dual_add_f32 v17, v145, v25
	v_add_f32_e32 v25, v32, v7
	v_add_f32_e32 v3, v104, v13
	;; [unrolled: 1-line block ×9, first 2 shown]
	ds_store_2addr_b64 v67, v[16:17], v[20:21] offset0:4 offset1:5
	ds_store_2addr_b64 v67, v[6:7], v[18:19] offset0:6 offset1:7
	;; [unrolled: 1-line block ×3, first 2 shown]
	ds_store_b64 v67, v[2:3] offset:80
	ds_store_2addr_b64 v67, v[4:5], v[12:13] offset0:2 offset1:3
	ds_store_2addr_b64 v67, v[8:9], v[0:1] offset1:1
	global_wb scope:SCOPE_SE
	s_wait_dscnt 0x0
	s_barrier_signal -1
	s_barrier_wait -1
	global_inv scope:SCOPE_SE
	s_clause 0x4
	global_load_b128 v[12:15], v24, s[10:11]
	global_load_b128 v[8:11], v24, s[10:11] offset:16
	global_load_b128 v[4:7], v24, s[10:11] offset:32
	;; [unrolled: 1-line block ×4, first 2 shown]
	ds_load_2addr_b64 v[20:23], v66 offset1:11
	ds_load_2addr_b64 v[36:39], v66 offset0:22 offset1:33
	ds_load_2addr_b64 v[32:35], v66 offset0:44 offset1:55
	ds_load_2addr_b64 v[28:31], v66 offset0:66 offset1:77
	ds_load_2addr_b64 v[24:27], v66 offset0:88 offset1:99
	ds_load_b64 v[63:64], v66 offset:880
	s_wait_loadcnt_dscnt 0x404
	v_mul_f32_e32 v72, v36, v15
	v_mul_f32_e32 v70, v22, v13
	s_wait_loadcnt_dscnt 0x202
	v_dual_mul_f32 v80, v28, v7 :: v_dual_mul_f32 v73, v39, v9
	s_wait_loadcnt_dscnt 0x1
	v_dual_mul_f32 v86, v26, v17 :: v_dual_mul_f32 v75, v33, v11
	s_wait_dscnt 0x0
	v_mul_f32_e32 v88, v63, v19
	v_mul_f32_e32 v71, v37, v15
	v_fmac_f32_e32 v72, v37, v14
	v_dual_fmac_f32 v86, v27, v16 :: v_dual_mul_f32 v83, v25, v3
	v_mul_f32_e32 v74, v38, v9
	v_dual_mul_f32 v76, v32, v11 :: v_dual_mul_f32 v69, v23, v13
	v_mul_f32_e32 v82, v30, v1
	v_dual_mul_f32 v84, v24, v3 :: v_dual_mul_f32 v77, v35, v5
	v_fmac_f32_e32 v70, v23, v12
	v_fmac_f32_e32 v80, v29, v6
	;; [unrolled: 1-line block ×3, first 2 shown]
	s_delay_alu instid0(VALU_DEP_4)
	v_fmac_f32_e32 v84, v25, v2
	v_fma_f32 v23, v36, v14, -v71
	v_fma_f32 v36, v38, v8, -v73
	v_add_f32_e32 v38, v72, v86
	v_fma_f32 v24, v24, v2, -v83
	v_mul_f32_e32 v85, v27, v17
	v_dual_mul_f32 v78, v34, v5 :: v_dual_mul_f32 v79, v29, v7
	v_dual_mul_f32 v81, v31, v1 :: v_dual_fmac_f32 v76, v33, v10
	v_fma_f32 v22, v22, v12, -v69
	v_fma_f32 v33, v34, v4, -v77
	v_fmac_f32_e32 v82, v31, v0
	v_dual_sub_f32 v34, v70, v88 :: v_dual_mul_f32 v87, v64, v19
	v_add_f32_e32 v64, v36, v24
	v_fma_f32 v31, v26, v16, -v85
	v_fmac_f32_e32 v74, v39, v8
	v_add_f32_e32 v26, v21, v70
	v_fmac_f32_e32 v78, v35, v4
	v_fma_f32 v32, v32, v10, -v75
	v_sub_f32_e32 v39, v23, v31
	v_add_f32_e32 v25, v20, v22
	v_add_f32_e32 v35, v23, v31
	v_fma_f32 v28, v28, v6, -v79
	v_fma_f32 v29, v30, v0, -v81
	v_mul_f32_e32 v96, 0xbf68dda4, v39
	v_add_f32_e32 v23, v25, v23
	v_dual_add_f32 v25, v26, v72 :: v_dual_mul_f32 v26, 0xbf0a6770, v34
	v_fma_f32 v37, v63, v18, -v87
	v_add_f32_e32 v30, v70, v88
	v_sub_f32_e32 v70, v36, v24
	v_sub_f32_e32 v85, v33, v28
	v_add_f32_e32 v87, v78, v80
	v_add_f32_e32 v27, v22, v37
	v_sub_f32_e32 v22, v22, v37
	v_sub_f32_e32 v69, v74, v84
	v_add_f32_e32 v71, v74, v84
	v_dual_sub_f32 v77, v32, v29 :: v_dual_mul_f32 v108, 0x3e903f40, v70
	s_delay_alu instid0(VALU_DEP_4) | instskip(NEXT) | instid1(VALU_DEP_4)
	v_dual_mul_f32 v92, 0xbf7d64f0, v22 :: v_dual_sub_f32 v81, v78, v80
	v_mul_f32_e32 v104, 0x3e903f40, v69
	v_mul_f32_e32 v90, 0xbf68dda4, v22
	v_dual_sub_f32 v63, v72, v86 :: v_dual_mul_f32 v98, 0xbf4178ce, v39
	v_dual_sub_f32 v73, v76, v82 :: v_dual_mul_f32 v100, 0x3e903f40, v39
	v_mul_f32_e32 v72, 0xbf0a6770, v22
	v_mul_f32_e32 v94, 0xbf4178ce, v22
	v_fmamk_f32 v131, v30, 0xbe11bafb, v92
	v_dual_add_f32 v79, v76, v82 :: v_dual_mul_f32 v102, 0x3f7d64f0, v39
	v_mul_f32_e32 v22, 0xbe903f40, v22
	v_dual_mul_f32 v39, 0x3f0a6770, v39 :: v_dual_mul_f32 v124, 0x3f0a6770, v85
	v_dual_mul_f32 v109, 0x3f68dda4, v70 :: v_dual_mul_f32 v122, 0x3f68dda4, v81
	v_mul_f32_e32 v110, 0xbf0a6770, v70
	v_fma_f32 v126, 0x3f575c64, v27, -v26
	v_fmac_f32_e32 v26, 0x3f575c64, v27
	v_mul_f32_e32 v97, 0xbf4178ce, v63
	v_fmamk_f32 v129, v30, 0x3ed4b147, v90
	v_fma_f32 v90, 0x3ed4b147, v30, -v90
	v_mul_f32_e32 v99, 0x3e903f40, v63
	v_fma_f32 v92, 0xbe11bafb, v30, -v92
	v_fmamk_f32 v139, v38, 0xbf75a155, v100
	v_add_f32_e32 v131, v21, v131
	v_mul_f32_e32 v117, 0xbf0a6770, v77
	v_fmamk_f32 v127, v30, 0x3f575c64, v72
	v_fma_f32 v72, 0x3f575c64, v30, -v72
	v_mul_f32_e32 v89, 0xbf68dda4, v34
	v_dual_mul_f32 v93, 0xbf4178ce, v34 :: v_dual_add_f32 v92, v21, v92
	v_dual_mul_f32 v101, 0x3f7d64f0, v63 :: v_dual_mul_f32 v116, 0x3f7d64f0, v77
	v_mul_f32_e32 v112, 0x3f7d64f0, v73
	v_dual_mul_f32 v118, 0xbe903f40, v77 :: v_dual_add_f32 v25, v25, v74
	v_fmamk_f32 v135, v30, 0xbf75a155, v22
	v_fma_f32 v22, 0xbf75a155, v30, -v22
	v_fma_f32 v100, 0xbf75a155, v38, -v100
	;; [unrolled: 1-line block ×3, first 2 shown]
	v_fmac_f32_e32 v104, 0xbf75a155, v64
	v_add_f32_e32 v26, v20, v26
	v_fma_f32 v136, 0xbf27a4f4, v35, -v97
	v_fmac_f32_e32 v97, 0xbf27a4f4, v35
	v_fmamk_f32 v133, v30, 0xbf27a4f4, v94
	v_fma_f32 v94, 0xbf27a4f4, v30, -v94
	v_fmamk_f32 v30, v38, 0x3ed4b147, v96
	v_fma_f32 v96, 0x3ed4b147, v38, -v96
	v_dual_add_f32 v72, v21, v72 :: v_dual_mul_f32 v115, 0xbf4178ce, v77
	v_dual_mul_f32 v77, 0x3f68dda4, v77 :: v_dual_add_f32 v92, v100, v92
	v_fma_f32 v128, 0x3ed4b147, v27, -v89
	v_dual_fmac_f32 v89, 0x3ed4b147, v27 :: v_dual_add_f32 v90, v21, v90
	v_fma_f32 v138, 0xbf75a155, v35, -v99
	v_fmac_f32_e32 v99, 0xbf75a155, v35
	v_add_f32_e32 v75, v32, v29
	v_dual_add_f32 v83, v33, v28 :: v_dual_mul_f32 v106, 0xbf0a6770, v69
	v_dual_mul_f32 v91, 0xbf7d64f0, v34 :: v_dual_add_f32 v128, v20, v128
	v_fma_f32 v132, 0xbf27a4f4, v27, -v93
	v_mul_f32_e32 v105, 0x3f68dda4, v69
	v_fmamk_f32 v154, v79, 0x3f575c64, v117
	v_dual_fmamk_f32 v156, v79, 0x3ed4b147, v77 :: v_dual_add_f32 v127, v21, v127
	v_mul_f32_e32 v107, 0xbf7d64f0, v70
	v_mul_f32_e32 v70, 0xbf4178ce, v70
	v_dual_mul_f32 v114, 0xbe903f40, v73 :: v_dual_add_f32 v23, v23, v36
	v_dual_add_f32 v25, v25, v76 :: v_dual_mul_f32 v34, 0xbe903f40, v34
	v_dual_mul_f32 v95, 0xbf68dda4, v63 :: v_dual_add_f32 v126, v20, v126
	v_dual_mul_f32 v63, 0x3f0a6770, v63 :: v_dual_mul_f32 v120, 0x3f0a6770, v81
	v_fma_f32 v130, 0xbe11bafb, v27, -v91
	v_mul_f32_e32 v103, 0xbf7d64f0, v69
	v_dual_mul_f32 v69, 0xbf4178ce, v69 :: v_dual_add_f32 v94, v21, v94
	v_fma_f32 v151, 0xbf75a155, v75, -v114
	v_dual_fmac_f32 v114, 0xbf75a155, v75 :: v_dual_add_f32 v89, v20, v89
	v_fma_f32 v159, 0x3ed4b147, v83, -v122
	v_fmac_f32_e32 v122, 0x3ed4b147, v83
	v_add_f32_e32 v132, v20, v132
	v_fma_f32 v144, 0x3ed4b147, v64, -v105
	v_fmac_f32_e32 v105, 0x3ed4b147, v64
	v_fmamk_f32 v141, v38, 0xbe11bafb, v102
	v_fma_f32 v102, 0xbe11bafb, v38, -v102
	v_add_f32_e32 v23, v23, v32
	v_add_f32_e32 v25, v25, v78
	v_mul_f32_e32 v119, 0xbe903f40, v81
	v_dual_fmac_f32 v93, 0xbf27a4f4, v27 :: v_dual_fmamk_f32 v148, v71, 0xbf27a4f4, v70
	v_fma_f32 v134, 0xbf75a155, v27, -v34
	v_fmac_f32_e32 v34, 0xbf75a155, v27
	v_fma_f32 v140, 0xbe11bafb, v35, -v101
	v_fmac_f32_e32 v101, 0xbe11bafb, v35
	;; [unrolled: 2-line block ×5, first 2 shown]
	v_fma_f32 v157, 0x3f575c64, v83, -v120
	v_dual_add_f32 v130, v20, v130 :: v_dual_add_f32 v23, v23, v33
	v_add_f32_e32 v30, v30, v127
	v_dual_fmamk_f32 v36, v71, 0xbe11bafb, v107 :: v_dual_add_f32 v33, v136, v128
	v_fmamk_f32 v137, v38, 0xbf27a4f4, v98
	v_fmac_f32_e32 v91, 0xbe11bafb, v27
	v_fma_f32 v27, 0x3ed4b147, v35, -v95
	v_fma_f32 v98, 0xbf27a4f4, v38, -v98
	v_add_f32_e32 v78, v97, v89
	v_dual_fmac_f32 v120, 0x3f575c64, v83 :: v_dual_add_f32 v133, v21, v133
	v_fmac_f32_e32 v95, 0x3ed4b147, v35
	v_fmamk_f32 v35, v38, 0x3f575c64, v39
	v_fma_f32 v38, 0x3f575c64, v38, -v39
	v_fma_f32 v39, 0xbe11bafb, v64, -v103
	v_fmac_f32_e32 v103, 0xbe11bafb, v64
	v_fma_f32 v64, 0xbe11bafb, v71, -v107
	v_fma_f32 v107, 0xbf75a155, v71, -v108
	v_add_f32_e32 v94, v102, v94
	v_fmamk_f32 v74, v71, 0xbf75a155, v108
	v_dual_fmamk_f32 v108, v71, 0x3ed4b147, v109 :: v_dual_add_f32 v129, v21, v129
	v_add_f32_e32 v25, v25, v80
	v_dual_mul_f32 v111, 0xbf4178ce, v73 :: v_dual_add_f32 v134, v20, v134
	v_mul_f32_e32 v113, 0xbf0a6770, v73
	v_fmamk_f32 v153, v79, 0xbe11bafb, v116
	v_fmamk_f32 v155, v79, 0xbf75a155, v118
	v_fma_f32 v118, 0xbf75a155, v79, -v118
	v_add_f32_e32 v93, v20, v93
	v_add_f32_e32 v32, v96, v72
	;; [unrolled: 1-line block ×5, first 2 shown]
	v_dual_add_f32 v20, v20, v34 :: v_dual_mul_f32 v121, 0xbf4178ce, v81
	v_mul_f32_e32 v81, 0xbf7d64f0, v81
	v_add_f32_e32 v27, v27, v126
	v_dual_add_f32 v23, v23, v28 :: v_dual_add_f32 v28, v36, v30
	v_dual_mul_f32 v125, 0xbf4178ce, v85 :: v_dual_add_f32 v30, v64, v32
	s_delay_alu instid0(VALU_DEP_4)
	v_fma_f32 v160, 0xbe11bafb, v83, -v81
	v_add_f32_e32 v91, v99, v91
	v_fma_f32 v109, 0x3ed4b147, v71, -v109
	v_fmamk_f32 v147, v71, 0x3f575c64, v110
	v_fma_f32 v110, 0x3f575c64, v71, -v110
	v_fma_f32 v70, 0xbf27a4f4, v71, -v70
	;; [unrolled: 1-line block ×3, first 2 shown]
	v_add_f32_e32 v89, v138, v130
	v_dual_add_f32 v97, v142, v134 :: v_dual_add_f32 v20, v63, v20
	v_add_f32_e32 v27, v39, v27
	v_add_f32_e32 v64, v105, v91
	;; [unrolled: 1-line block ×3, first 2 shown]
	v_dual_mul_f32 v73, 0x3f68dda4, v73 :: v_dual_add_f32 v26, v95, v26
	v_add_f32_e32 v95, v140, v132
	v_fmac_f32_e32 v111, 0xbf27a4f4, v75
	v_fma_f32 v149, 0xbe11bafb, v75, -v112
	v_fmac_f32_e32 v112, 0xbe11bafb, v75
	v_fma_f32 v150, 0x3f575c64, v75, -v113
	;; [unrolled: 2-line block ×4, first 2 shown]
	v_fma_f32 v117, 0x3f575c64, v79, -v117
	v_fma_f32 v77, 0x3ed4b147, v79, -v77
	v_add_f32_e32 v32, v143, v33
	v_fmamk_f32 v75, v79, 0xbf27a4f4, v115
	v_fma_f32 v115, 0xbf27a4f4, v79, -v115
	v_fma_f32 v79, 0xbf75a155, v83, -v119
	v_fmac_f32_e32 v119, 0xbf75a155, v83
	v_add_f32_e32 v33, v74, v72
	v_dual_add_f32 v39, v144, v89 :: v_dual_add_f32 v72, v109, v92
	v_add_f32_e32 v93, v101, v93
	v_dual_add_f32 v74, v145, v95 :: v_dual_add_f32 v89, v146, v97
	;; [unrolled: 2-line block ×3, first 2 shown]
	v_add_f32_e32 v21, v21, v22
	v_dual_mul_f32 v123, 0xbe903f40, v85 :: v_dual_add_f32 v26, v103, v26
	v_fma_f32 v158, 0xbf27a4f4, v83, -v121
	v_dual_fmac_f32 v81, 0xbe11bafb, v83 :: v_dual_add_f32 v36, v104, v78
	v_add_f32_e32 v80, v106, v93
	v_dual_add_f32 v78, v147, v96 :: v_dual_fmac_f32 v121, 0xbf27a4f4, v83
	v_dual_add_f32 v26, v111, v26 :: v_dual_mul_f32 v83, 0x3f68dda4, v85
	v_add_f32_e32 v23, v23, v29
	v_dual_add_f32 v29, v115, v30 :: v_dual_add_f32 v30, v149, v32
	v_add_f32_e32 v28, v75, v28
	v_add_f32_e32 v32, v153, v33
	v_mul_f32_e32 v85, 0xbf7d64f0, v85
	v_dual_add_f32 v73, v73, v20 :: v_dual_add_f32 v20, v79, v27
	v_dual_add_f32 v21, v38, v21 :: v_dual_fmamk_f32 v22, v87, 0xbf75a155, v123
	v_fma_f32 v34, 0xbf75a155, v87, -v123
	v_fmamk_f32 v123, v87, 0x3f575c64, v124
	v_fma_f32 v124, 0x3f575c64, v87, -v124
	v_fmamk_f32 v162, v87, 0x3ed4b147, v83
	v_fma_f32 v76, 0x3ed4b147, v87, -v83
	v_add_f32_e32 v21, v70, v21
	v_add_f32_e32 v33, v112, v36
	v_fmamk_f32 v161, v87, 0xbf27a4f4, v125
	v_fma_f32 v125, 0xbf27a4f4, v87, -v125
	v_add_f32_e32 v70, v155, v78
	v_fmamk_f32 v83, v87, 0xbe11bafb, v85
	v_fma_f32 v85, 0xbe11bafb, v87, -v85
	v_dual_add_f32 v87, v98, v90 :: v_dual_add_f32 v78, v25, v84
	v_add_f32_e32 v77, v77, v21
	v_dual_add_f32 v21, v22, v28 :: v_dual_add_f32 v22, v119, v26
	s_delay_alu instid0(VALU_DEP_3) | instskip(SKIP_2) | instid1(VALU_DEP_3)
	v_add_f32_e32 v38, v107, v87
	v_dual_add_f32 v90, v139, v131 :: v_dual_add_f32 v87, v110, v94
	v_dual_add_f32 v26, v120, v33 :: v_dual_add_f32 v69, v117, v72
	v_add_f32_e32 v36, v116, v38
	s_delay_alu instid0(VALU_DEP_3) | instskip(SKIP_1) | instid1(VALU_DEP_3)
	v_dual_add_f32 v63, v108, v90 :: v_dual_add_f32 v38, v150, v39
	v_add_f32_e32 v71, v114, v80
	v_dual_add_f32 v72, v118, v87 :: v_dual_add_f32 v27, v124, v36
	s_delay_alu instid0(VALU_DEP_3) | instskip(SKIP_4) | instid1(VALU_DEP_3)
	v_add_f32_e32 v39, v154, v63
	v_dual_add_f32 v63, v113, v64 :: v_dual_add_f32 v64, v151, v74
	v_dual_add_f32 v74, v152, v89 :: v_dual_add_f32 v35, v35, v135
	v_add_f32_e32 v28, v158, v38
	v_add_f32_e32 v33, v162, v70
	;; [unrolled: 1-line block ×3, first 2 shown]
	s_delay_alu instid0(VALU_DEP_4) | instskip(NEXT) | instid1(VALU_DEP_1)
	v_add_f32_e32 v35, v148, v35
	v_add_f32_e32 v75, v156, v35
	;; [unrolled: 1-line block ×6, first 2 shown]
	s_delay_alu instid0(VALU_DEP_4) | instskip(SKIP_1) | instid1(VALU_DEP_3)
	v_dual_add_f32 v24, v157, v30 :: v_dual_add_f32 v31, v35, v31
	v_dual_add_f32 v25, v123, v32 :: v_dual_add_f32 v30, v121, v63
	v_add_f32_e32 v39, v39, v88
	v_add_f32_e32 v32, v159, v64
	s_delay_alu instid0(VALU_DEP_4)
	v_add_f32_e32 v38, v31, v37
	v_add_f32_e32 v37, v83, v75
	v_dual_add_f32 v34, v122, v71 :: v_dual_add_f32 v35, v76, v72
	v_add_f32_e32 v63, v81, v73
	v_add_f32_e32 v64, v85, v77
	;; [unrolled: 1-line block ×3, first 2 shown]
	ds_store_2addr_b64 v66, v[38:39], v[20:21] offset1:11
	ds_store_2addr_b64 v66, v[24:25], v[28:29] offset0:22 offset1:33
	ds_store_2addr_b64 v66, v[32:33], v[36:37] offset0:44 offset1:55
	ds_store_2addr_b64 v66, v[63:64], v[34:35] offset0:66 offset1:77
	ds_store_2addr_b64 v66, v[30:31], v[26:27] offset0:88 offset1:99
	ds_store_b64 v66, v[22:23] offset:880
	global_wb scope:SCOPE_SE
	s_wait_dscnt 0x0
	s_barrier_signal -1
	s_barrier_wait -1
	global_inv scope:SCOPE_SE
	s_clause 0xa
	global_load_b64 v[63:64], v68, s[8:9] offset:968
	global_load_b64 v[69:70], v68, s[2:3] offset:88
	;; [unrolled: 1-line block ×11, first 2 shown]
	ds_load_2addr_b64 v[20:23], v66 offset1:11
	ds_load_2addr_b64 v[24:27], v66 offset0:22 offset1:33
	ds_load_2addr_b64 v[28:31], v66 offset0:44 offset1:55
	ds_load_2addr_b64 v[32:35], v66 offset0:66 offset1:77
	ds_load_2addr_b64 v[36:39], v66 offset0:88 offset1:99
	ds_load_b64 v[89:90], v66 offset:880
	s_load_b64 s[2:3], s[0:1], 0x38
	s_mov_b32 s0, 0x6be69c90
	s_mov_b32 s1, 0x3f80ecf5
	s_wait_loadcnt_dscnt 0xa05
	v_mul_f32_e32 v68, v21, v64
	s_wait_loadcnt 0x9
	v_dual_mul_f32 v92, v20, v64 :: v_dual_mul_f32 v93, v23, v70
	v_mul_f32_e32 v64, v22, v70
	s_wait_loadcnt_dscnt 0x804
	v_mul_f32_e32 v94, v25, v72
	s_wait_loadcnt 0x7
	v_dual_mul_f32 v70, v24, v72 :: v_dual_mul_f32 v95, v27, v74
	v_mul_f32_e32 v72, v26, v74
	;; [unrolled: 5-line block ×5, first 2 shown]
	s_wait_loadcnt_dscnt 0x0
	v_mul_f32_e32 v102, v90, v88
	v_mul_f32_e32 v86, v89, v88
	v_fma_f32 v91, v20, v63, -v68
	v_fmac_f32_e32 v92, v21, v63
	v_fma_f32 v63, v22, v69, -v93
	v_fmac_f32_e32 v64, v23, v69
	;; [unrolled: 2-line block ×11, first 2 shown]
	ds_store_2addr_b64 v66, v[91:92], v[63:64] offset1:11
	ds_store_2addr_b64 v66, v[69:70], v[71:72] offset0:22 offset1:33
	ds_store_2addr_b64 v66, v[73:74], v[75:76] offset0:44 offset1:55
	;; [unrolled: 1-line block ×4, first 2 shown]
	ds_store_b64 v66, v[85:86] offset:880
	global_wb scope:SCOPE_SE
	s_wait_dscnt 0x0
	s_wait_kmcnt 0x0
	s_barrier_signal -1
	s_barrier_wait -1
	global_inv scope:SCOPE_SE
	ds_load_2addr_b64 v[28:31], v66 offset1:11
	ds_load_b64 v[63:64], v66 offset:880
	ds_load_2addr_b64 v[36:39], v66 offset0:22 offset1:33
	ds_load_2addr_b64 v[20:23], v66 offset0:88 offset1:99
	;; [unrolled: 1-line block ×4, first 2 shown]
	global_wb scope:SCOPE_SE
	s_wait_dscnt 0x0
	s_barrier_signal -1
	s_barrier_wait -1
	global_inv scope:SCOPE_SE
	v_add_f32_e32 v68, v28, v30
	v_add_f32_e32 v70, v63, v30
	v_sub_f32_e32 v30, v30, v63
	v_add_f32_e32 v72, v22, v36
	v_sub_f32_e32 v74, v36, v22
	v_dual_add_f32 v36, v68, v36 :: v_dual_add_f32 v85, v25, v35
	v_sub_f32_e32 v82, v32, v26
	v_add_f32_e32 v76, v20, v38
	v_sub_f32_e32 v78, v38, v20
	s_delay_alu instid0(VALU_DEP_4) | instskip(SKIP_3) | instid1(VALU_DEP_4)
	v_dual_add_f32 v36, v36, v38 :: v_dual_sub_f32 v83, v33, v27
	v_mul_f32_e32 v122, 0xbf75a155, v85
	v_add_f32_e32 v81, v27, v33
	v_dual_sub_f32 v79, v39, v21 :: v_dual_sub_f32 v86, v34, v24
	v_mul_f32_e32 v110, 0xbf4178ce, v83
	v_mul_f32_e32 v112, 0xbf0a6770, v83
	s_delay_alu instid0(VALU_DEP_4)
	v_dual_add_f32 v77, v21, v39 :: v_dual_mul_f32 v116, 0x3f575c64, v81
	v_add_f32_e32 v69, v29, v31
	v_add_f32_e32 v71, v64, v31
	v_dual_sub_f32 v31, v31, v64 :: v_dual_mul_f32 v102, 0xbf7d64f0, v79
	v_dual_add_f32 v73, v23, v37 :: v_dual_mul_f32 v104, 0x3f68dda4, v79
	v_dual_sub_f32 v75, v37, v23 :: v_dual_mul_f32 v114, 0xbf27a4f4, v81
	s_delay_alu instid0(VALU_DEP_3) | instskip(SKIP_3) | instid1(VALU_DEP_4)
	v_mul_f32_e32 v68, 0xbf0a6770, v31
	v_dual_mul_f32 v92, 0xbf4178ce, v31 :: v_dual_sub_f32 v87, v35, v25
	v_mul_f32_e32 v88, 0xbf68dda4, v31
	v_mul_f32_e32 v90, 0xbf7d64f0, v31
	v_fmamk_f32 v38, v70, 0x3f575c64, v68
	v_mul_f32_e32 v31, 0xbe903f40, v31
	v_mul_f32_e32 v94, 0xbf68dda4, v75
	;; [unrolled: 1-line block ×3, first 2 shown]
	v_dual_mul_f32 v97, 0xbf27a4f4, v73 :: v_dual_fmamk_f32 v130, v70, 0xbf27a4f4, v92
	v_mul_f32_e32 v98, 0x3e903f40, v75
	v_mul_f32_e32 v100, 0x3f7d64f0, v75
	v_dual_mul_f32 v75, 0x3f0a6770, v75 :: v_dual_fmamk_f32 v154, v82, 0x3f0a6770, v116
	v_mul_f32_e32 v106, 0xbe11bafb, v77
	v_dual_add_f32 v37, v69, v37 :: v_dual_mul_f32 v118, 0xbe903f40, v87
	v_mul_f32_e32 v108, 0x3ed4b147, v77
	s_delay_alu instid0(VALU_DEP_4)
	v_dual_mul_f32 v69, 0x3f575c64, v71 :: v_dual_fmamk_f32 v140, v72, 0x3f575c64, v75
	v_dual_mul_f32 v89, 0x3ed4b147, v71 :: v_dual_fmamk_f32 v126, v70, 0x3ed4b147, v88
	;; [unrolled: 1-line block ×3, first 2 shown]
	v_dual_mul_f32 v93, 0xbf27a4f4, v71 :: v_dual_mul_f32 v124, 0xbf27a4f4, v85
	v_dual_mul_f32 v71, 0xbf75a155, v71 :: v_dual_fmamk_f32 v132, v70, 0xbf75a155, v31
	v_fma_f32 v92, 0xbf27a4f4, v70, -v92
	v_dual_add_f32 v84, v24, v34 :: v_dual_mul_f32 v99, 0xbf75a155, v73
	v_fmamk_f32 v136, v72, 0xbf75a155, v98
	v_dual_mul_f32 v101, 0xbe11bafb, v73 :: v_dual_fmamk_f32 v138, v72, 0xbe11bafb, v100
	v_mul_f32_e32 v103, 0x3e903f40, v79
	v_dual_mul_f32 v105, 0xbf0a6770, v79 :: v_dual_fmac_f32 v116, 0xbf0a6770, v82
	v_mul_f32_e32 v79, 0xbf4178ce, v79
	v_mul_f32_e32 v107, 0xbf75a155, v77
	v_dual_mul_f32 v109, 0x3f575c64, v77 :: v_dual_add_f32 v38, v28, v38
	v_dual_mul_f32 v77, 0xbf27a4f4, v77 :: v_dual_fmamk_f32 v134, v72, 0xbf27a4f4, v96
	s_delay_alu instid0(VALU_DEP_4)
	v_dual_add_f32 v37, v37, v39 :: v_dual_fmamk_f32 v144, v76, 0xbf27a4f4, v79
	v_dual_fmamk_f32 v39, v30, 0x3f0a6770, v69 :: v_dual_add_f32 v92, v28, v92
	v_fma_f32 v68, 0x3f575c64, v70, -v68
	v_fma_f32 v88, 0x3ed4b147, v70, -v88
	v_fma_f32 v90, 0xbe11bafb, v70, -v90
	v_fma_f32 v31, 0xbf75a155, v70, -v31
	v_fmamk_f32 v129, v30, 0x3f7d64f0, v91
	v_fmac_f32_e32 v91, 0xbf7d64f0, v30
	v_fmamk_f32 v70, v30, 0x3e903f40, v71
	v_fmamk_f32 v127, v30, 0x3f68dda4, v89
	v_dual_fmac_f32 v89, 0xbf68dda4, v30 :: v_dual_fmamk_f32 v146, v78, 0xbf68dda4, v108
	v_fma_f32 v100, 0xbe11bafb, v72, -v100
	v_dual_add_f32 v80, v26, v32 :: v_dual_mul_f32 v95, 0x3ed4b147, v73
	v_dual_mul_f32 v111, 0x3f7d64f0, v83 :: v_dual_add_f32 v68, v28, v68
	v_dual_mul_f32 v113, 0xbe903f40, v83 :: v_dual_add_f32 v126, v28, v126
	v_mul_f32_e32 v115, 0xbe11bafb, v81
	v_dual_mul_f32 v117, 0xbf75a155, v81 :: v_dual_add_f32 v88, v28, v88
	v_dual_mul_f32 v81, 0x3ed4b147, v81 :: v_dual_fmamk_f32 v142, v76, 0x3ed4b147, v104
	v_dual_mul_f32 v119, 0x3f0a6770, v87 :: v_dual_add_f32 v128, v28, v128
	v_mul_f32_e32 v120, 0xbf4178ce, v87
	v_dual_mul_f32 v121, 0x3f68dda4, v87 :: v_dual_add_f32 v90, v28, v90
	v_dual_mul_f32 v123, 0x3f575c64, v85 :: v_dual_add_f32 v130, v28, v130
	v_dual_fmac_f32 v69, 0xbf0a6770, v30 :: v_dual_add_f32 v132, v28, v132
	v_dual_fmamk_f32 v137, v74, 0xbe903f40, v99 :: v_dual_add_f32 v92, v100, v92
	v_fmac_f32_e32 v99, 0x3e903f40, v74
	v_dual_fmamk_f32 v148, v78, 0x3f4178ce, v77 :: v_dual_add_f32 v39, v29, v39
	v_fmac_f32_e32 v71, 0xbe903f40, v30
	v_add_f32_e32 v89, v29, v89
	v_dual_fmamk_f32 v135, v74, 0x3f4178ce, v97 :: v_dual_add_f32 v28, v28, v31
	v_add_f32_e32 v129, v29, v129
	v_dual_fmac_f32 v97, 0xbf4178ce, v74 :: v_dual_add_f32 v32, v36, v32
	v_fmamk_f32 v131, v30, 0x3f4178ce, v93
	v_fmac_f32_e32 v93, 0xbf4178ce, v30
	v_fmamk_f32 v30, v72, 0x3ed4b147, v94
	v_fma_f32 v94, 0x3ed4b147, v72, -v94
	v_dual_add_f32 v32, v32, v34 :: v_dual_add_f32 v91, v29, v91
	v_add_f32_e32 v33, v37, v33
	v_dual_mul_f32 v73, 0x3f575c64, v73 :: v_dual_fmamk_f32 v150, v80, 0x3f575c64, v112
	v_dual_mul_f32 v83, 0x3f68dda4, v83 :: v_dual_fmac_f32 v108, 0x3f68dda4, v78
	v_fma_f32 v96, 0xbf27a4f4, v72, -v96
	v_fma_f32 v98, 0xbf75a155, v72, -v98
	;; [unrolled: 1-line block ×3, first 2 shown]
	v_dual_fmamk_f32 v156, v82, 0xbf68dda4, v81 :: v_dual_add_f32 v69, v29, v69
	v_dual_fmamk_f32 v133, v74, 0x3f68dda4, v95 :: v_dual_add_f32 v70, v29, v70
	;; [unrolled: 1-line block ×3, first 2 shown]
	v_fma_f32 v120, 0xbf27a4f4, v84, -v120
	v_add_f32_e32 v33, v33, v35
	v_dual_add_f32 v35, v94, v68 :: v_dual_add_f32 v68, v97, v89
	v_dual_fmac_f32 v95, 0xbf68dda4, v74 :: v_dual_add_f32 v94, v140, v132
	v_add_f32_e32 v89, v99, v91
	v_dual_fmamk_f32 v141, v76, 0xbf75a155, v103 :: v_dual_add_f32 v30, v30, v38
	v_fma_f32 v103, 0xbf75a155, v76, -v103
	v_fma_f32 v104, 0x3ed4b147, v76, -v104
	v_fmamk_f32 v143, v76, 0x3f575c64, v105
	v_fma_f32 v105, 0x3f575c64, v76, -v105
	v_dual_fmamk_f32 v145, v78, 0xbe903f40, v107 :: v_dual_add_f32 v24, v32, v24
	v_dual_fmamk_f32 v147, v78, 0x3f0a6770, v109 :: v_dual_add_f32 v38, v135, v127
	v_add_f32_e32 v36, v95, v69
	v_dual_add_f32 v34, v133, v39 :: v_dual_fmamk_f32 v75, v74, 0xbf0a6770, v73
	v_fmamk_f32 v139, v74, 0xbf7d64f0, v101
	v_dual_fmac_f32 v101, 0x3f7d64f0, v74 :: v_dual_add_f32 v28, v72, v28
	v_fmac_f32_e32 v73, 0x3f0a6770, v74
	v_fmamk_f32 v74, v76, 0xbe11bafb, v102
	v_fma_f32 v102, 0xbe11bafb, v76, -v102
	v_fma_f32 v76, 0xbf27a4f4, v76, -v79
	v_dual_fmamk_f32 v79, v78, 0x3f7d64f0, v106 :: v_dual_add_f32 v38, v145, v38
	v_dual_add_f32 v72, v108, v89 :: v_dual_add_f32 v131, v29, v131
	v_dual_mul_f32 v87, 0xbf7d64f0, v87 :: v_dual_fmac_f32 v106, 0xbf7d64f0, v78
	s_delay_alu instid0(VALU_DEP_4)
	v_dual_fmac_f32 v77, 0xbf4178ce, v78 :: v_dual_add_f32 v28, v76, v28
	v_dual_fmamk_f32 v151, v80, 0xbf75a155, v113 :: v_dual_add_f32 v30, v74, v30
	v_add_f32_e32 v39, v96, v88
	v_fmac_f32_e32 v107, 0x3e903f40, v78
	v_add_f32_e32 v34, v79, v34
	v_add_f32_e32 v70, v75, v70
	v_add_f32_e32 v91, v139, v131
	v_fmac_f32_e32 v109, 0xbf0a6770, v78
	v_dual_fmamk_f32 v78, v80, 0xbf27a4f4, v110 :: v_dual_add_f32 v93, v29, v93
	v_fma_f32 v110, 0xbf27a4f4, v80, -v110
	v_dual_fmamk_f32 v155, v82, 0x3e903f40, v117 :: v_dual_add_f32 v24, v24, v26
	s_delay_alu instid0(VALU_DEP_3)
	v_dual_fmamk_f32 v159, v84, 0x3ed4b147, v121 :: v_dual_add_f32 v26, v78, v30
	v_add_f32_e32 v37, v134, v126
	v_add_f32_e32 v35, v102, v35
	v_dual_mul_f32 v125, 0x3ed4b147, v85 :: v_dual_fmamk_f32 v152, v80, 0x3ed4b147, v83
	v_dual_mul_f32 v85, 0xbe11bafb, v85 :: v_dual_fmamk_f32 v160, v84, 0xbe11bafb, v87
	v_fmamk_f32 v149, v80, 0xbe11bafb, v111
	v_fma_f32 v111, 0xbe11bafb, v80, -v111
	v_fma_f32 v112, 0x3f575c64, v80, -v112
	v_fma_f32 v113, 0xbf75a155, v80, -v113
	v_fma_f32 v80, 0x3ed4b147, v80, -v83
	v_fmamk_f32 v83, v82, 0x3f4178ce, v114
	v_fmac_f32_e32 v114, 0xbf4178ce, v82
	v_dual_fmamk_f32 v153, v82, 0xbf7d64f0, v115 :: v_dual_add_f32 v70, v148, v70
	v_dual_fmac_f32 v115, 0x3f7d64f0, v82 :: v_dual_add_f32 v30, v110, v35
	v_dual_add_f32 v93, v101, v93 :: v_dual_add_f32 v36, v106, v36
	v_fmac_f32_e32 v117, 0xbe903f40, v82
	v_dual_add_f32 v37, v141, v37 :: v_dual_add_f32 v32, v103, v39
	v_fmac_f32_e32 v81, 0x3f68dda4, v82
	v_fmamk_f32 v82, v84, 0xbf75a155, v118
	v_fma_f32 v118, 0xbf75a155, v84, -v118
	v_fmamk_f32 v157, v84, 0x3f575c64, v119
	v_fma_f32 v119, 0x3f575c64, v84, -v119
	v_fma_f32 v121, 0x3ed4b147, v84, -v121
	v_fma_f32 v84, 0xbe11bafb, v84, -v87
	v_fmamk_f32 v87, v86, 0x3e903f40, v122
	v_fmac_f32_e32 v122, 0xbe903f40, v86
	v_dual_fmamk_f32 v161, v86, 0xbf68dda4, v125 :: v_dual_add_f32 v78, v24, v20
	v_dual_fmamk_f32 v162, v86, 0x3f7d64f0, v85 :: v_dual_add_f32 v69, v136, v128
	v_add_f32_e32 v88, v98, v90
	v_add_f32_e32 v90, v138, v130
	;; [unrolled: 1-line block ×4, first 2 shown]
	v_dual_fmamk_f32 v71, v86, 0x3f4178ce, v124 :: v_dual_add_f32 v70, v156, v70
	v_dual_fmac_f32 v124, 0xbf4178ce, v86 :: v_dual_add_f32 v79, v109, v93
	v_fmamk_f32 v31, v86, 0xbf0a6770, v123
	v_dual_fmac_f32 v123, 0x3f0a6770, v86 :: v_dual_add_f32 v76, v80, v28
	v_add_f32_e32 v35, v149, v37
	v_dual_fmac_f32 v125, 0x3f68dda4, v86 :: v_dual_add_f32 v32, v111, v32
	v_dual_fmac_f32 v85, 0xbf7d64f0, v86 :: v_dual_add_f32 v86, v137, v129
	v_dual_add_f32 v24, v118, v30 :: v_dual_add_f32 v25, v33, v25
	v_add_f32_e32 v33, v107, v68
	v_add_f32_e32 v39, v142, v69
	s_delay_alu instid0(VALU_DEP_4) | instskip(NEXT) | instid1(VALU_DEP_4)
	v_dual_add_f32 v68, v146, v86 :: v_dual_add_f32 v69, v104, v88
	v_dual_add_f32 v25, v25, v27 :: v_dual_add_f32 v86, v144, v94
	;; [unrolled: 1-line block ×3, first 2 shown]
	s_delay_alu instid0(VALU_DEP_4) | instskip(NEXT) | instid1(VALU_DEP_4)
	v_dual_add_f32 v36, v153, v38 :: v_dual_add_f32 v37, v150, v39
	v_dual_add_f32 v38, v154, v68 :: v_dual_add_f32 v39, v112, v69
	v_add_f32_e32 v68, v116, v72
	v_add_f32_e32 v72, v155, v74
	v_add_f32_e32 v74, v117, v79
	v_add_f32_e32 v79, v25, v21
	v_add_f32_e32 v29, v73, v29
	v_add_f32_e32 v73, v143, v90
	v_add_f32_e32 v75, v105, v92
	v_add_f32_e32 v28, v119, v32
	v_dual_add_f32 v32, v120, v39 :: v_dual_add_f32 v39, v162, v70
	v_dual_add_f32 v70, v79, v23 :: v_dual_add_f32 v29, v77, v29
	v_add_f32_e32 v69, v151, v73
	v_add_f32_e32 v73, v113, v75
	;; [unrolled: 1-line block ×5, first 2 shown]
	v_dual_add_f32 v25, v122, v34 :: v_dual_add_f32 v34, v159, v69
	v_add_f32_e32 v69, v78, v22
	v_dual_add_f32 v20, v82, v26 :: v_dual_add_f32 v21, v87, v27
	v_dual_add_f32 v26, v157, v35 :: v_dual_add_f32 v27, v31, v36
	v_add_f32_e32 v31, v71, v38
	v_dual_add_f32 v35, v161, v72 :: v_dual_add_f32 v38, v160, v75
	v_add_f32_e32 v30, v158, v37
	v_add_f32_e32 v36, v121, v73
	v_dual_add_f32 v37, v125, v74 :: v_dual_add_f32 v22, v84, v76
	v_add_f32_e32 v23, v85, v77
	v_add_f32_e32 v29, v123, v33
	;; [unrolled: 1-line block ×3, first 2 shown]
	v_dual_add_f32 v63, v69, v63 :: v_dual_add_f32 v64, v70, v64
	ds_store_2addr_b64 v67, v[34:35], v[38:39] offset0:4 offset1:5
	ds_store_2addr_b64 v67, v[22:23], v[36:37] offset0:6 offset1:7
	;; [unrolled: 1-line block ×3, first 2 shown]
	ds_store_b64 v67, v[24:25] offset:80
	ds_store_2addr_b64 v67, v[26:27], v[30:31] offset0:2 offset1:3
	ds_store_2addr_b64 v67, v[63:64], v[20:21] offset1:1
	global_wb scope:SCOPE_SE
	s_wait_dscnt 0x0
	s_barrier_signal -1
	s_barrier_wait -1
	global_inv scope:SCOPE_SE
	ds_load_2addr_b64 v[20:23], v66 offset1:11
	ds_load_2addr_b64 v[24:27], v66 offset0:22 offset1:33
	ds_load_2addr_b64 v[28:31], v66 offset0:44 offset1:55
	;; [unrolled: 1-line block ×4, first 2 shown]
	ds_load_b64 v[63:64], v66 offset:880
	s_wait_dscnt 0x5
	v_mul_f32_e32 v67, v13, v23
	s_wait_dscnt 0x4
	v_mul_f32_e32 v69, v9, v27
	v_mul_f32_e32 v70, v9, v26
	;; [unrolled: 1-line block ×3, first 2 shown]
	s_wait_dscnt 0x1
	v_mul_f32_e32 v75, v3, v37
	v_dual_mul_f32 v76, v3, v36 :: v_dual_fmac_f32 v69, v8, v26
	v_fma_f32 v8, v8, v27, -v70
	v_mul_f32_e32 v77, v17, v39
	s_delay_alu instid0(VALU_DEP_4) | instskip(NEXT) | instid1(VALU_DEP_4)
	v_fmac_f32_e32 v75, v2, v36
	v_fma_f32 v2, v2, v37, -v76
	v_mul_f32_e32 v72, v5, v30
	s_wait_dscnt 0x0
	v_mul_f32_e32 v78, v19, v64
	v_dual_mul_f32 v19, v19, v63 :: v_dual_fmac_f32 v68, v14, v24
	v_sub_f32_e32 v26, v8, v2
	v_fmac_f32_e32 v77, v16, v38
	v_mul_f32_e32 v73, v1, v35
	v_mul_f32_e32 v74, v1, v34
	v_mul_f32_e32 v17, v17, v38
	v_dual_mul_f32 v70, 0x3e903f40, v26 :: v_dual_mul_f32 v9, v5, v31
	v_fma_f32 v1, v4, v31, -v72
	v_dual_fmac_f32 v67, v12, v22 :: v_dual_fmac_f32 v78, v18, v63
	s_delay_alu instid0(VALU_DEP_3)
	v_fmac_f32_e32 v9, v4, v30
	v_fma_f32 v4, v18, v64, -v19
	v_sub_f32_e32 v19, v68, v77
	v_mul_f32_e32 v5, v7, v33
	v_mul_f32_e32 v7, v7, v32
	v_mul_f32_e32 v13, v13, v22
	s_delay_alu instid0(VALU_DEP_3) | instskip(NEXT) | instid1(VALU_DEP_3)
	v_fmac_f32_e32 v5, v6, v32
	v_fma_f32 v3, v6, v33, -v7
	v_fma_f32 v6, v16, v39, -v17
	v_add_f32_e32 v17, v68, v77
	v_mul_f32_e32 v15, v15, v24
	v_fma_f32 v12, v12, v23, -v13
	v_add_f32_e32 v24, v8, v2
	v_sub_f32_e32 v16, v67, v78
	s_delay_alu instid0(VALU_DEP_4) | instskip(NEXT) | instid1(VALU_DEP_4)
	v_fma_f32 v13, v14, v25, -v15
	v_dual_add_f32 v15, v12, v4 :: v_dual_add_f32 v14, v67, v78
	s_delay_alu instid0(VALU_DEP_2) | instskip(SKIP_1) | instid1(VALU_DEP_2)
	v_sub_f32_e32 v22, v13, v6
	v_add_f32_e32 v18, v13, v6
	v_dual_mul_f32 v38, 0x3e903f40, v22 :: v_dual_mul_f32 v71, v11, v29
	v_mul_f32_e32 v63, 0x3f7d64f0, v22
	s_delay_alu instid0(VALU_DEP_3) | instskip(NEXT) | instid1(VALU_DEP_3)
	v_dual_mul_f32 v11, v11, v28 :: v_dual_mul_f32 v64, 0xbe11bafb, v18
	v_dual_fmamk_f32 v86, v17, 0xbf75a155, v38 :: v_dual_fmac_f32 v71, v10, v28
	s_delay_alu instid0(VALU_DEP_3) | instskip(NEXT) | instid1(VALU_DEP_3)
	v_fmamk_f32 v88, v17, 0xbe11bafb, v63
	v_fma_f32 v10, v10, v29, -v11
	v_add_f32_e32 v11, v21, v12
	v_dual_sub_f32 v12, v12, v4 :: v_dual_fmamk_f32 v89, v19, 0xbf7d64f0, v64
	v_mul_f32_e32 v36, 0xbf4178ce, v22
	v_mul_f32_e32 v39, 0xbf75a155, v18
	;; [unrolled: 1-line block ×3, first 2 shown]
	s_delay_alu instid0(VALU_DEP_4) | instskip(SKIP_2) | instid1(VALU_DEP_3)
	v_mul_f32_e32 v32, 0xbf4178ce, v12
	v_mul_f32_e32 v28, 0xbf68dda4, v12
	;; [unrolled: 1-line block ×3, first 2 shown]
	v_fmamk_f32 v80, v14, 0xbf27a4f4, v32
	v_fma_f32 v32, 0xbf27a4f4, v14, -v32
	s_delay_alu instid0(VALU_DEP_3) | instskip(SKIP_2) | instid1(VALU_DEP_4)
	v_dual_add_f32 v11, v11, v13 :: v_dual_fmamk_f32 v76, v14, 0xbe11bafb, v30
	v_fma_f32 v30, 0xbe11bafb, v14, -v30
	v_fmamk_f32 v72, v14, 0x3ed4b147, v28
	v_add_f32_e32 v32, v20, v32
	s_delay_alu instid0(VALU_DEP_4)
	v_add_f32_e32 v8, v11, v8
	v_fma_f32 v28, 0x3ed4b147, v14, -v28
	v_add_f32_e32 v30, v20, v30
	v_add_f32_e32 v80, v20, v80
	;; [unrolled: 1-line block ×6, first 2 shown]
	s_delay_alu instid0(VALU_DEP_3) | instskip(SKIP_1) | instid1(VALU_DEP_2)
	v_dual_add_f32 v8, v8, v1 :: v_dual_mul_f32 v13, 0xbf0a6770, v12
	v_mul_f32_e32 v12, 0xbe903f40, v12
	v_add_f32_e32 v8, v8, v3
	v_mul_f32_e32 v33, 0xbf27a4f4, v15
	s_delay_alu instid0(VALU_DEP_3) | instskip(SKIP_1) | instid1(VALU_DEP_3)
	v_fmamk_f32 v82, v14, 0xbf75a155, v12
	v_fma_f32 v12, 0xbf75a155, v14, -v12
	v_fmamk_f32 v81, v16, 0x3f4178ce, v33
	s_delay_alu instid0(VALU_DEP_3) | instskip(NEXT) | instid1(VALU_DEP_3)
	v_dual_add_f32 v82, v20, v82 :: v_dual_sub_f32 v25, v69, v75
	v_dual_add_f32 v12, v20, v12 :: v_dual_add_f32 v23, v69, v75
	s_delay_alu instid0(VALU_DEP_3)
	v_add_f32_e32 v81, v21, v81
	v_fmac_f32_e32 v73, v0, v34
	v_fma_f32 v0, v0, v35, -v74
	v_mul_f32_e32 v34, 0xbf68dda4, v22
	v_mul_f32_e32 v22, 0x3f0a6770, v22
	v_fmamk_f32 v92, v23, 0xbf75a155, v70
	s_delay_alu instid0(VALU_DEP_4) | instskip(SKIP_1) | instid1(VALU_DEP_2)
	v_dual_add_f32 v8, v8, v0 :: v_dual_fmamk_f32 v11, v14, 0x3f575c64, v13
	v_fma_f32 v13, 0x3f575c64, v14, -v13
	v_dual_fmac_f32 v33, 0xbf4178ce, v16 :: v_dual_add_f32 v2, v8, v2
	s_delay_alu instid0(VALU_DEP_3) | instskip(NEXT) | instid1(VALU_DEP_3)
	v_add_f32_e32 v11, v20, v11
	v_add_f32_e32 v13, v20, v13
	s_delay_alu instid0(VALU_DEP_3) | instskip(SKIP_4) | instid1(VALU_DEP_3)
	v_dual_add_f32 v33, v21, v33 :: v_dual_add_f32 v2, v2, v6
	v_fma_f32 v38, 0xbf75a155, v17, -v38
	v_dual_add_f32 v7, v20, v67 :: v_dual_fmamk_f32 v90, v17, 0x3f575c64, v22
	v_fmamk_f32 v14, v17, 0x3ed4b147, v34
	v_fma_f32 v34, 0x3ed4b147, v17, -v34
	v_dual_add_f32 v30, v38, v30 :: v_dual_add_f32 v7, v7, v68
	v_mul_f32_e32 v68, 0xbe11bafb, v24
	v_fmamk_f32 v84, v17, 0xbf27a4f4, v36
	v_fma_f32 v36, 0xbf27a4f4, v17, -v36
	v_fma_f32 v63, 0xbe11bafb, v17, -v63
	;; [unrolled: 1-line block ×3, first 2 shown]
	v_dual_add_f32 v8, v90, v82 :: v_dual_mul_f32 v27, 0x3f575c64, v15
	v_dual_mul_f32 v29, 0x3ed4b147, v15 :: v_dual_add_f32 v20, v84, v72
	v_dual_add_f32 v7, v7, v69 :: v_dual_fmamk_f32 v22, v25, 0x3f7d64f0, v68
	v_mul_f32_e32 v31, 0xbe11bafb, v15
	v_mul_f32_e32 v15, 0xbf75a155, v15
	v_fmamk_f32 v69, v16, 0x3f0a6770, v27
	v_add_f32_e32 v13, v34, v13
	v_dual_mul_f32 v35, 0x3ed4b147, v18 :: v_dual_add_f32 v12, v17, v12
	v_fmac_f32_e32 v64, 0x3f7d64f0, v19
	v_fmac_f32_e32 v27, 0xbf0a6770, v16
	v_fmamk_f32 v74, v16, 0x3f68dda4, v29
	v_fmamk_f32 v79, v16, 0x3f7d64f0, v31
	v_fmac_f32_e32 v31, 0xbf7d64f0, v16
	v_fmamk_f32 v83, v16, 0x3e903f40, v15
	v_fmac_f32_e32 v15, 0xbe903f40, v16
	v_add_f32_e32 v69, v21, v69
	v_add_f32_e32 v33, v64, v33
	v_fmac_f32_e32 v29, 0xbf68dda4, v16
	v_fmamk_f32 v16, v19, 0x3f68dda4, v35
	v_dual_fmamk_f32 v87, v19, 0xbe903f40, v39 :: v_dual_add_f32 v74, v21, v74
	v_add_f32_e32 v7, v7, v71
	v_add_f32_e32 v79, v21, v79
	s_delay_alu instid0(VALU_DEP_4) | instskip(SKIP_2) | instid1(VALU_DEP_4)
	v_dual_add_f32 v11, v14, v11 :: v_dual_add_f32 v14, v16, v69
	v_fmac_f32_e32 v35, 0xbf68dda4, v19
	v_mul_f32_e32 v18, 0x3f575c64, v18
	v_add_f32_e32 v34, v87, v79
	v_add_f32_e32 v32, v63, v32
	v_add_f32_e32 v14, v22, v14
	v_dual_mul_f32 v22, 0x3ed4b147, v24 :: v_dual_add_f32 v7, v7, v9
	v_add_f32_e32 v27, v21, v27
	v_fmamk_f32 v85, v19, 0x3f4178ce, v37
	v_fmamk_f32 v91, v19, 0xbf0a6770, v18
	s_delay_alu instid0(VALU_DEP_4) | instskip(NEXT) | instid1(VALU_DEP_4)
	v_dual_fmac_f32 v18, 0x3f0a6770, v19 :: v_dual_add_f32 v7, v7, v5
	v_dual_add_f32 v16, v35, v27 :: v_dual_add_f32 v27, v36, v28
	v_add_f32_e32 v36, v89, v81
	v_add_f32_e32 v15, v21, v15
	s_delay_alu instid0(VALU_DEP_4) | instskip(SKIP_2) | instid1(VALU_DEP_4)
	v_add_f32_e32 v7, v7, v73
	v_add_f32_e32 v29, v21, v29
	v_dual_add_f32 v31, v21, v31 :: v_dual_fmac_f32 v68, 0xbf7d64f0, v25
	v_add_f32_e32 v15, v18, v15
	s_delay_alu instid0(VALU_DEP_4) | instskip(SKIP_1) | instid1(VALU_DEP_2)
	v_add_f32_e32 v7, v7, v75
	v_add_f32_e32 v17, v92, v20
	;; [unrolled: 1-line block ×3, first 2 shown]
	s_delay_alu instid0(VALU_DEP_1) | instskip(SKIP_2) | instid1(VALU_DEP_2)
	v_dual_add_f32 v6, v7, v78 :: v_dual_add_f32 v7, v2, v4
	v_mul_f32_e32 v2, 0xbf75a155, v24
	v_fmac_f32_e32 v39, 0x3e903f40, v19
	v_fmamk_f32 v18, v25, 0xbe903f40, v2
	v_dual_fmac_f32 v2, 0x3e903f40, v25 :: v_dual_add_f32 v83, v21, v83
	v_add_f32_e32 v21, v85, v74
	s_delay_alu instid0(VALU_DEP_1) | instskip(SKIP_3) | instid1(VALU_DEP_3)
	v_dual_add_f32 v31, v39, v31 :: v_dual_add_f32 v18, v18, v21
	v_fmac_f32_e32 v37, 0xbf4178ce, v19
	v_fmamk_f32 v21, v25, 0xbf68dda4, v22
	v_fmac_f32_e32 v22, 0x3f68dda4, v25
	v_dual_add_f32 v28, v37, v29 :: v_dual_add_f32 v29, v86, v76
	s_delay_alu instid0(VALU_DEP_2) | instskip(NEXT) | instid1(VALU_DEP_2)
	v_dual_mul_f32 v67, 0xbf7d64f0, v26 :: v_dual_add_f32 v22, v22, v31
	v_dual_add_f32 v21, v21, v34 :: v_dual_add_f32 v2, v2, v28
	v_mul_f32_e32 v28, 0x3f575c64, v24
	s_delay_alu instid0(VALU_DEP_3) | instskip(SKIP_1) | instid1(VALU_DEP_2)
	v_fmamk_f32 v19, v23, 0xbe11bafb, v67
	v_fma_f32 v67, 0xbe11bafb, v23, -v67
	v_dual_mul_f32 v24, 0xbf27a4f4, v24 :: v_dual_add_f32 v11, v19, v11
	s_delay_alu instid0(VALU_DEP_2) | instskip(SKIP_2) | instid1(VALU_DEP_2)
	v_dual_add_f32 v4, v67, v13 :: v_dual_add_f32 v13, v68, v16
	v_mul_f32_e32 v16, 0x3f68dda4, v26
	v_fma_f32 v19, 0xbf75a155, v23, -v70
	v_fmamk_f32 v20, v23, 0x3ed4b147, v16
	v_fma_f32 v16, 0x3ed4b147, v23, -v16
	s_delay_alu instid0(VALU_DEP_2) | instskip(NEXT) | instid1(VALU_DEP_2)
	v_add_f32_e32 v20, v20, v29
	v_add_f32_e32 v16, v16, v30
	v_fmamk_f32 v30, v25, 0x3f0a6770, v28
	v_fmac_f32_e32 v28, 0xbf0a6770, v25
	s_delay_alu instid0(VALU_DEP_2) | instskip(NEXT) | instid1(VALU_DEP_2)
	v_add_f32_e32 v30, v30, v36
	v_dual_add_f32 v28, v28, v33 :: v_dual_add_f32 v19, v19, v27
	v_mul_f32_e32 v27, 0xbf0a6770, v26
	v_dual_mul_f32 v26, 0xbf4178ce, v26 :: v_dual_add_f32 v33, v71, v73
	s_delay_alu instid0(VALU_DEP_2) | instskip(SKIP_1) | instid1(VALU_DEP_3)
	v_fmamk_f32 v29, v23, 0x3f575c64, v27
	v_fma_f32 v27, 0x3f575c64, v23, -v27
	v_fmamk_f32 v31, v23, 0xbf27a4f4, v26
	v_fma_f32 v23, 0xbf27a4f4, v23, -v26
	s_delay_alu instid0(VALU_DEP_3) | instskip(SKIP_4) | instid1(VALU_DEP_4)
	v_add_f32_e32 v27, v27, v32
	v_sub_f32_e32 v32, v10, v0
	v_add_f32_e32 v0, v10, v0
	v_dual_add_f32 v8, v31, v8 :: v_dual_fmamk_f32 v31, v25, 0x3f4178ce, v24
	v_fmac_f32_e32 v24, 0xbf4178ce, v25
	v_dual_mul_f32 v10, 0xbf4178ce, v32 :: v_dual_sub_f32 v25, v71, v73
	s_delay_alu instid0(VALU_DEP_4) | instskip(NEXT) | instid1(VALU_DEP_3)
	v_mul_f32_e32 v26, 0xbf27a4f4, v0
	v_dual_add_f32 v12, v23, v12 :: v_dual_add_f32 v15, v24, v15
	s_delay_alu instid0(VALU_DEP_3) | instskip(SKIP_1) | instid1(VALU_DEP_4)
	v_fmamk_f32 v34, v33, 0xbf27a4f4, v10
	v_mul_f32_e32 v24, 0x3f7d64f0, v32
	v_fmamk_f32 v23, v25, 0x3f4178ce, v26
	v_fma_f32 v10, 0xbf27a4f4, v33, -v10
	s_delay_alu instid0(VALU_DEP_4) | instskip(NEXT) | instid1(VALU_DEP_4)
	v_dual_fmac_f32 v26, 0xbf4178ce, v25 :: v_dual_add_f32 v11, v34, v11
	v_fmamk_f32 v34, v33, 0xbe11bafb, v24
	s_delay_alu instid0(VALU_DEP_4) | instskip(NEXT) | instid1(VALU_DEP_4)
	v_add_f32_e32 v14, v23, v14
	v_add_f32_e32 v4, v10, v4
	s_delay_alu instid0(VALU_DEP_4) | instskip(SKIP_3) | instid1(VALU_DEP_4)
	v_dual_add_f32 v10, v26, v13 :: v_dual_mul_f32 v13, 0xbf0a6770, v32
	v_mul_f32_e32 v23, 0xbe11bafb, v0
	v_add_f32_e32 v17, v34, v17
	v_fma_f32 v24, 0xbe11bafb, v33, -v24
	v_fmamk_f32 v34, v33, 0x3f575c64, v13
	s_delay_alu instid0(VALU_DEP_4) | instskip(SKIP_1) | instid1(VALU_DEP_3)
	v_fmamk_f32 v26, v25, 0xbf7d64f0, v23
	v_fma_f32 v13, 0x3f575c64, v33, -v13
	v_dual_fmac_f32 v23, 0x3f7d64f0, v25 :: v_dual_add_f32 v20, v34, v20
	v_mul_f32_e32 v34, 0xbf75a155, v0
	s_delay_alu instid0(VALU_DEP_4) | instskip(SKIP_2) | instid1(VALU_DEP_4)
	v_add_f32_e32 v18, v26, v18
	v_mul_f32_e32 v26, 0x3f575c64, v0
	v_add_f32_e32 v13, v13, v16
	v_dual_add_f32 v23, v23, v2 :: v_dual_fmamk_f32 v16, v25, 0x3e903f40, v34
	v_dual_fmac_f32 v34, 0xbe903f40, v25 :: v_dual_add_f32 v37, v91, v83
	v_mul_f32_e32 v2, 0xbe903f40, v32
	v_mul_f32_e32 v0, 0x3ed4b147, v0
	s_delay_alu instid0(VALU_DEP_4) | instskip(NEXT) | instid1(VALU_DEP_4)
	v_add_f32_e32 v16, v16, v30
	v_dual_add_f32 v28, v34, v28 :: v_dual_add_f32 v19, v24, v19
	v_fmamk_f32 v24, v25, 0x3f0a6770, v26
	v_dual_fmac_f32 v26, 0xbf0a6770, v25 :: v_dual_add_f32 v35, v88, v80
	v_fmamk_f32 v30, v25, 0xbf68dda4, v0
	v_add_f32_e32 v34, v1, v3
	v_fmac_f32_e32 v0, 0x3f68dda4, v25
	s_delay_alu instid0(VALU_DEP_4)
	v_dual_add_f32 v22, v26, v22 :: v_dual_add_f32 v29, v29, v35
	v_fmamk_f32 v35, v33, 0xbf75a155, v2
	v_mul_f32_e32 v26, 0x3f68dda4, v32
	v_fma_f32 v2, 0xbf75a155, v33, -v2
	v_dual_sub_f32 v32, v1, v3 :: v_dual_add_f32 v31, v31, v37
	v_sub_f32_e32 v25, v9, v5
	s_delay_alu instid0(VALU_DEP_2)
	v_dual_add_f32 v27, v2, v27 :: v_dual_mul_f32 v2, 0xbe903f40, v32
	v_add_f32_e32 v21, v24, v21
	v_dual_add_f32 v24, v35, v29 :: v_dual_fmamk_f32 v29, v33, 0x3ed4b147, v26
	v_dual_add_f32 v30, v30, v31 :: v_dual_add_f32 v31, v9, v5
	v_mul_f32_e32 v5, 0xbf75a155, v34
	v_mul_f32_e32 v35, 0xbf27a4f4, v34
	s_delay_alu instid0(VALU_DEP_4)
	v_add_f32_e32 v29, v29, v8
	v_mul_f32_e32 v8, 0x3f0a6770, v32
	v_fma_f32 v1, 0x3ed4b147, v33, -v26
	v_fmamk_f32 v3, v31, 0xbf75a155, v2
	v_add_f32_e32 v33, v0, v15
	v_fma_f32 v2, 0xbf75a155, v31, -v2
	s_delay_alu instid0(VALU_DEP_4) | instskip(NEXT) | instid1(VALU_DEP_4)
	v_dual_fmamk_f32 v9, v31, 0x3f575c64, v8 :: v_dual_add_f32 v26, v1, v12
	v_dual_add_f32 v0, v3, v11 :: v_dual_fmamk_f32 v1, v25, 0x3e903f40, v5
	v_fmac_f32_e32 v5, 0xbe903f40, v25
	v_mul_f32_e32 v11, 0x3f575c64, v34
	v_fma_f32 v8, 0x3f575c64, v31, -v8
	s_delay_alu instid0(VALU_DEP_4) | instskip(NEXT) | instid1(VALU_DEP_4)
	v_dual_add_f32 v2, v2, v4 :: v_dual_add_f32 v1, v1, v14
	v_add_f32_e32 v3, v5, v10
	s_delay_alu instid0(VALU_DEP_4) | instskip(SKIP_3) | instid1(VALU_DEP_3)
	v_fmamk_f32 v5, v25, 0xbf0a6770, v11
	v_mul_f32_e32 v14, 0x3f68dda4, v32
	v_mul_f32_e32 v10, 0xbf4178ce, v32
	v_dual_fmac_f32 v11, 0x3f0a6770, v25 :: v_dual_add_f32 v8, v8, v19
	v_dual_add_f32 v5, v5, v18 :: v_dual_fmamk_f32 v18, v31, 0x3ed4b147, v14
	s_delay_alu instid0(VALU_DEP_3) | instskip(SKIP_2) | instid1(VALU_DEP_4)
	v_fmamk_f32 v12, v31, 0xbf27a4f4, v10
	v_fma_f32 v15, 0xbf27a4f4, v31, -v10
	v_fma_f32 v19, 0x3ed4b147, v31, -v14
	v_add_f32_e32 v14, v18, v24
	v_mul_f32_e32 v18, 0xbf7d64f0, v32
	v_dual_add_f32 v4, v9, v17 :: v_dual_add_f32 v9, v11, v23
	v_fmamk_f32 v11, v25, 0x3f4178ce, v35
	v_dual_mul_f32 v17, 0x3ed4b147, v34 :: v_dual_add_f32 v10, v12, v20
	v_add_f32_e32 v12, v15, v13
	v_fma_f32 v20, 0xbe11bafb, v31, -v18
	s_delay_alu instid0(VALU_DEP_4) | instskip(NEXT) | instid1(VALU_DEP_4)
	v_add_f32_e32 v11, v11, v21
	v_fmamk_f32 v13, v25, 0xbf68dda4, v17
	v_mul_f32_e32 v21, 0xbe11bafb, v34
	v_fmac_f32_e32 v17, 0x3f68dda4, v25
	v_dual_fmac_f32 v35, 0xbf4178ce, v25 :: v_dual_add_f32 v20, v20, v26
	s_delay_alu instid0(VALU_DEP_4) | instskip(SKIP_4) | instid1(VALU_DEP_3)
	v_dual_add_f32 v15, v13, v16 :: v_dual_add_f32 v16, v19, v27
	v_fmamk_f32 v13, v31, 0xbe11bafb, v18
	v_fmamk_f32 v19, v25, 0x3f7d64f0, v21
	v_fmac_f32_e32 v21, 0xbf7d64f0, v25
	v_add_f32_e32 v17, v17, v28
	v_dual_add_f32 v18, v13, v29 :: v_dual_add_f32 v19, v19, v30
	s_delay_alu instid0(VALU_DEP_3)
	v_add_f32_e32 v21, v21, v33
	v_add_f32_e32 v13, v35, v22
	ds_store_2addr_b64 v66, v[6:7], v[0:1] offset1:11
	ds_store_2addr_b64 v66, v[4:5], v[10:11] offset0:22 offset1:33
	ds_store_2addr_b64 v66, v[14:15], v[18:19] offset0:44 offset1:55
	;; [unrolled: 1-line block ×4, first 2 shown]
	ds_store_b64 v66, v[2:3] offset:880
	global_wb scope:SCOPE_SE
	s_wait_dscnt 0x0
	s_barrier_signal -1
	s_barrier_wait -1
	global_inv scope:SCOPE_SE
	ds_load_2addr_b64 v[0:3], v66 offset1:11
	v_mad_co_u64_u32 v[16:17], null, s6, v40, 0
	v_mad_co_u64_u32 v[22:23], null, s4, v65, 0
	s_wait_dscnt 0x0
	v_mul_f32_e32 v4, v62, v1
	s_delay_alu instid0(VALU_DEP_1) | instskip(SKIP_1) | instid1(VALU_DEP_2)
	v_fmac_f32_e32 v4, v61, v0
	v_mul_f32_e32 v0, v62, v0
	v_cvt_f64_f32_e32 v[8:9], v4
	s_delay_alu instid0(VALU_DEP_2) | instskip(SKIP_4) | instid1(VALU_DEP_3)
	v_fma_f32 v0, v61, v1, -v0
	ds_load_2addr_b64 v[4:7], v66 offset0:22 offset1:33
	v_mul_f32_e32 v1, v60, v2
	v_cvt_f64_f32_e32 v[20:21], v0
	v_mul_f32_e32 v0, v60, v3
	v_fma_f32 v1, v59, v3, -v1
	s_delay_alu instid0(VALU_DEP_2) | instskip(NEXT) | instid1(VALU_DEP_1)
	v_fmac_f32_e32 v0, v59, v2
	v_cvt_f64_f32_e32 v[24:25], v0
	s_wait_dscnt 0x0
	v_mul_f32_e32 v12, v58, v5
	v_dual_mul_f32 v2, v58, v4 :: v_dual_mul_f32 v13, v48, v7
	s_delay_alu instid0(VALU_DEP_2) | instskip(NEXT) | instid1(VALU_DEP_2)
	v_fmac_f32_e32 v12, v57, v4
	v_fma_f32 v14, v57, v5, -v2
	s_delay_alu instid0(VALU_DEP_3)
	v_fmac_f32_e32 v13, v47, v6
	v_cvt_f64_f32_e32 v[4:5], v1
	ds_load_2addr_b64 v[0:3], v66 offset0:66 offset1:77
	v_cvt_f64_f32_e32 v[26:27], v12
	v_cvt_f64_f32_e32 v[28:29], v14
	;; [unrolled: 1-line block ×3, first 2 shown]
	ds_load_2addr_b64 v[12:15], v66 offset0:88 offset1:99
	v_mul_f32_e32 v6, v48, v6
	s_wait_alu 0xfffe
	v_mul_f64_e32 v[18:19], s[0:1], v[8:9]
	ds_load_2addr_b64 v[8:11], v66 offset0:44 offset1:55
	v_fma_f32 v6, v47, v7, -v6
	v_mul_f64_e32 v[20:21], s[0:1], v[20:21]
	s_delay_alu instid0(VALU_DEP_2)
	v_cvt_f64_f32_e32 v[6:7], v6
	s_wait_dscnt 0x2
	v_mul_f32_e32 v38, v46, v1
	v_dual_mul_f32 v39, v46, v0 :: v_dual_mul_f32 v46, v44, v3
	s_wait_dscnt 0x1
	v_dual_mul_f32 v44, v44, v2 :: v_dual_mul_f32 v47, v42, v13
	v_mul_f64_e32 v[24:25], s[0:1], v[24:25]
	v_fmac_f32_e32 v38, v45, v0
	v_fma_f32 v39, v45, v1, -v39
	s_wait_dscnt 0x0
	v_mul_f32_e32 v32, v56, v9
	v_dual_mul_f32 v33, v56, v8 :: v_dual_mul_f32 v34, v54, v11
	v_mul_f32_e32 v35, v54, v10
	v_fmac_f32_e32 v46, v43, v2
	s_delay_alu instid0(VALU_DEP_4) | instskip(NEXT) | instid1(VALU_DEP_4)
	v_fmac_f32_e32 v32, v55, v8
	v_fma_f32 v33, v55, v9, -v33
	v_fmac_f32_e32 v34, v53, v10
	v_fma_f32 v36, v53, v11, -v35
	v_fmac_f32_e32 v47, v41, v12
	v_cvt_f64_f32_e32 v[8:9], v32
	v_cvt_f64_f32_e32 v[10:11], v33
	v_cvt_f64_f32_e32 v[32:33], v34
	ds_load_b64 v[34:35], v66 offset:880
	v_mul_f32_e32 v12, v42, v12
	v_fma_f32 v43, v43, v3, -v44
	v_cvt_f64_f32_e32 v[0:1], v38
	v_cvt_f64_f32_e32 v[2:3], v39
	;; [unrolled: 1-line block ×4, first 2 shown]
	v_mul_f32_e32 v42, v50, v15
	v_mul_f32_e32 v47, v50, v14
	v_cvt_f64_f32_e32 v[36:37], v36
	v_fma_f32 v12, v41, v13, -v12
	v_cvt_f64_f32_e32 v[43:44], v43
	v_fmac_f32_e32 v42, v49, v14
	v_fma_f32 v41, v49, v15, -v47
	v_mul_f64_e32 v[4:5], s[0:1], v[4:5]
	v_cvt_f64_f32_e32 v[12:13], v12
	v_mul_f64_e32 v[26:27], s[0:1], v[26:27]
	v_cvt_f64_f32_e32 v[14:15], v42
	v_mul_f64_e32 v[28:29], s[0:1], v[28:29]
	v_mul_f64_e32 v[30:31], s[0:1], v[30:31]
	s_wait_dscnt 0x0
	v_mul_f32_e32 v48, v52, v35
	v_mul_f32_e32 v50, v52, v34
	v_mul_f64_e32 v[6:7], s[0:1], v[6:7]
	s_delay_alu instid0(VALU_DEP_3) | instskip(NEXT) | instid1(VALU_DEP_3)
	v_fmac_f32_e32 v48, v51, v34
	v_fma_f32 v47, v51, v35, -v50
	v_cvt_f64_f32_e32 v[34:35], v41
	v_mad_co_u64_u32 v[49:50], null, s7, v40, v[17:18]
	s_delay_alu instid0(VALU_DEP_4) | instskip(NEXT) | instid1(VALU_DEP_4)
	v_cvt_f64_f32_e32 v[41:42], v48
	v_cvt_f64_f32_e32 v[47:48], v47
	v_mad_co_u64_u32 v[50:51], null, s5, v65, v[23:24]
	v_cvt_f32_f64_e32 v18, v[18:19]
	v_mul_f64_e32 v[8:9], s[0:1], v[8:9]
	v_mov_b32_e32 v17, v49
	v_mul_f64_e32 v[10:11], s[0:1], v[10:11]
	v_cvt_f32_f64_e32 v19, v[20:21]
	v_cvt_f32_f64_e32 v20, v[24:25]
	v_mov_b32_e32 v23, v50
	v_lshlrev_b64_e32 v[16:17], 3, v[16:17]
	v_mul_f64_e32 v[0:1], s[0:1], v[0:1]
	v_mul_f64_e32 v[2:3], s[0:1], v[2:3]
	s_delay_alu instid0(VALU_DEP_3) | instskip(SKIP_1) | instid1(VALU_DEP_4)
	v_add_co_u32 v49, vcc_lo, s2, v16
	s_wait_alu 0xfffd
	v_add_co_ci_u32_e32 v50, vcc_lo, s3, v17, vcc_lo
	v_lshlrev_b64_e32 v[16:17], 3, v[22:23]
	v_mul_f64_e32 v[22:23], s[0:1], v[32:33]
	v_mul_f64_e32 v[32:33], s[0:1], v[36:37]
	;; [unrolled: 1-line block ×7, first 2 shown]
	v_cvt_f32_f64_e32 v21, v[4:5]
	v_add_co_u32 v16, vcc_lo, v49, v16
	s_wait_alu 0xfffd
	v_add_co_ci_u32_e32 v17, vcc_lo, v50, v17, vcc_lo
	v_cvt_f32_f64_e32 v24, v[26:27]
	v_mul_f64_e32 v[34:35], s[0:1], v[34:35]
	v_cvt_f32_f64_e32 v25, v[28:29]
	v_cvt_f32_f64_e32 v28, v[30:31]
	v_mul_f64_e32 v[40:41], s[0:1], v[41:42]
	v_mul_f64_e32 v[45:46], s[0:1], v[47:48]
	v_cvt_f32_f64_e32 v29, v[6:7]
	s_mul_u64 s[0:1], s[4:5], 0x58
	s_wait_alu 0xfffe
	v_add_co_u32 v4, vcc_lo, v16, s0
	s_wait_alu 0xfffd
	v_add_co_ci_u32_e32 v5, vcc_lo, s1, v17, vcc_lo
	v_cvt_f32_f64_e32 v6, v[8:9]
	v_cvt_f32_f64_e32 v7, v[10:11]
	v_add_co_u32 v26, vcc_lo, v4, s0
	s_wait_alu 0xfffd
	v_add_co_ci_u32_e32 v27, vcc_lo, s1, v5, vcc_lo
	v_cvt_f32_f64_e32 v0, v[0:1]
	s_delay_alu instid0(VALU_DEP_3) | instskip(SKIP_3) | instid1(VALU_DEP_3)
	v_add_co_u32 v8, vcc_lo, v26, s0
	v_cvt_f32_f64_e32 v1, v[2:3]
	s_wait_alu 0xfffd
	v_add_co_ci_u32_e32 v9, vcc_lo, s1, v27, vcc_lo
	v_add_co_u32 v30, vcc_lo, v8, s0
	v_cvt_f32_f64_e32 v10, v[22:23]
	v_cvt_f32_f64_e32 v11, v[32:33]
	;; [unrolled: 1-line block ×7, first 2 shown]
	s_wait_alu 0xfffd
	v_add_co_ci_u32_e32 v31, vcc_lo, s1, v9, vcc_lo
	global_store_b64 v[16:17], v[18:19], off
	v_add_co_u32 v16, vcc_lo, v30, s0
	v_cvt_f32_f64_e32 v13, v[34:35]
	s_wait_alu 0xfffd
	v_add_co_ci_u32_e32 v17, vcc_lo, s1, v31, vcc_lo
	v_cvt_f32_f64_e32 v14, v[40:41]
	v_cvt_f32_f64_e32 v15, v[45:46]
	global_store_b64 v[4:5], v[20:21], off
	v_add_co_u32 v4, vcc_lo, v16, s0
	s_wait_alu 0xfffd
	v_add_co_ci_u32_e32 v5, vcc_lo, s1, v17, vcc_lo
	global_store_b64 v[26:27], v[24:25], off
	v_add_co_u32 v18, vcc_lo, v4, s0
	s_wait_alu 0xfffd
	v_add_co_ci_u32_e32 v19, vcc_lo, s1, v5, vcc_lo
	;; [unrolled: 4-line block ×5, first 2 shown]
	global_store_b64 v[4:5], v[0:1], off
	global_store_b64 v[18:19], v[2:3], off
	;; [unrolled: 1-line block ×5, first 2 shown]
.LBB0_2:
	s_nop 0
	s_sendmsg sendmsg(MSG_DEALLOC_VGPRS)
	s_endpgm
	.section	.rodata,"a",@progbits
	.p2align	6, 0x0
	.amdhsa_kernel bluestein_single_back_len121_dim1_sp_op_CI_CI
		.amdhsa_group_segment_fixed_size 10648
		.amdhsa_private_segment_fixed_size 0
		.amdhsa_kernarg_size 104
		.amdhsa_user_sgpr_count 2
		.amdhsa_user_sgpr_dispatch_ptr 0
		.amdhsa_user_sgpr_queue_ptr 0
		.amdhsa_user_sgpr_kernarg_segment_ptr 1
		.amdhsa_user_sgpr_dispatch_id 0
		.amdhsa_user_sgpr_private_segment_size 0
		.amdhsa_wavefront_size32 1
		.amdhsa_uses_dynamic_stack 0
		.amdhsa_enable_private_segment 0
		.amdhsa_system_sgpr_workgroup_id_x 1
		.amdhsa_system_sgpr_workgroup_id_y 0
		.amdhsa_system_sgpr_workgroup_id_z 0
		.amdhsa_system_sgpr_workgroup_info 0
		.amdhsa_system_vgpr_workitem_id 0
		.amdhsa_next_free_vgpr 163
		.amdhsa_next_free_sgpr 20
		.amdhsa_reserve_vcc 1
		.amdhsa_float_round_mode_32 0
		.amdhsa_float_round_mode_16_64 0
		.amdhsa_float_denorm_mode_32 3
		.amdhsa_float_denorm_mode_16_64 3
		.amdhsa_fp16_overflow 0
		.amdhsa_workgroup_processor_mode 1
		.amdhsa_memory_ordered 1
		.amdhsa_forward_progress 0
		.amdhsa_round_robin_scheduling 0
		.amdhsa_exception_fp_ieee_invalid_op 0
		.amdhsa_exception_fp_denorm_src 0
		.amdhsa_exception_fp_ieee_div_zero 0
		.amdhsa_exception_fp_ieee_overflow 0
		.amdhsa_exception_fp_ieee_underflow 0
		.amdhsa_exception_fp_ieee_inexact 0
		.amdhsa_exception_int_div_zero 0
	.end_amdhsa_kernel
	.text
.Lfunc_end0:
	.size	bluestein_single_back_len121_dim1_sp_op_CI_CI, .Lfunc_end0-bluestein_single_back_len121_dim1_sp_op_CI_CI
                                        ; -- End function
	.section	.AMDGPU.csdata,"",@progbits
; Kernel info:
; codeLenInByte = 11604
; NumSgprs: 22
; NumVgprs: 163
; ScratchSize: 0
; MemoryBound: 0
; FloatMode: 240
; IeeeMode: 1
; LDSByteSize: 10648 bytes/workgroup (compile time only)
; SGPRBlocks: 2
; VGPRBlocks: 20
; NumSGPRsForWavesPerEU: 22
; NumVGPRsForWavesPerEU: 163
; Occupancy: 9
; WaveLimiterHint : 1
; COMPUTE_PGM_RSRC2:SCRATCH_EN: 0
; COMPUTE_PGM_RSRC2:USER_SGPR: 2
; COMPUTE_PGM_RSRC2:TRAP_HANDLER: 0
; COMPUTE_PGM_RSRC2:TGID_X_EN: 1
; COMPUTE_PGM_RSRC2:TGID_Y_EN: 0
; COMPUTE_PGM_RSRC2:TGID_Z_EN: 0
; COMPUTE_PGM_RSRC2:TIDIG_COMP_CNT: 0
	.text
	.p2alignl 7, 3214868480
	.fill 96, 4, 3214868480
	.type	__hip_cuid_7baf23d9a4586582,@object ; @__hip_cuid_7baf23d9a4586582
	.section	.bss,"aw",@nobits
	.globl	__hip_cuid_7baf23d9a4586582
__hip_cuid_7baf23d9a4586582:
	.byte	0                               ; 0x0
	.size	__hip_cuid_7baf23d9a4586582, 1

	.ident	"AMD clang version 19.0.0git (https://github.com/RadeonOpenCompute/llvm-project roc-6.4.0 25133 c7fe45cf4b819c5991fe208aaa96edf142730f1d)"
	.section	".note.GNU-stack","",@progbits
	.addrsig
	.addrsig_sym __hip_cuid_7baf23d9a4586582
	.amdgpu_metadata
---
amdhsa.kernels:
  - .args:
      - .actual_access:  read_only
        .address_space:  global
        .offset:         0
        .size:           8
        .value_kind:     global_buffer
      - .actual_access:  read_only
        .address_space:  global
        .offset:         8
        .size:           8
        .value_kind:     global_buffer
      - .actual_access:  read_only
        .address_space:  global
        .offset:         16
        .size:           8
        .value_kind:     global_buffer
      - .actual_access:  read_only
        .address_space:  global
        .offset:         24
        .size:           8
        .value_kind:     global_buffer
      - .actual_access:  read_only
        .address_space:  global
        .offset:         32
        .size:           8
        .value_kind:     global_buffer
      - .offset:         40
        .size:           8
        .value_kind:     by_value
      - .address_space:  global
        .offset:         48
        .size:           8
        .value_kind:     global_buffer
      - .address_space:  global
        .offset:         56
        .size:           8
        .value_kind:     global_buffer
      - .address_space:  global
        .offset:         64
        .size:           8
        .value_kind:     global_buffer
      - .address_space:  global
        .offset:         72
        .size:           8
        .value_kind:     global_buffer
      - .offset:         80
        .size:           4
        .value_kind:     by_value
      - .address_space:  global
        .offset:         88
        .size:           8
        .value_kind:     global_buffer
      - .address_space:  global
        .offset:         96
        .size:           8
        .value_kind:     global_buffer
    .group_segment_fixed_size: 10648
    .kernarg_segment_align: 8
    .kernarg_segment_size: 104
    .language:       OpenCL C
    .language_version:
      - 2
      - 0
    .max_flat_workgroup_size: 121
    .name:           bluestein_single_back_len121_dim1_sp_op_CI_CI
    .private_segment_fixed_size: 0
    .sgpr_count:     22
    .sgpr_spill_count: 0
    .symbol:         bluestein_single_back_len121_dim1_sp_op_CI_CI.kd
    .uniform_work_group_size: 1
    .uses_dynamic_stack: false
    .vgpr_count:     163
    .vgpr_spill_count: 0
    .wavefront_size: 32
    .workgroup_processor_mode: 1
amdhsa.target:   amdgcn-amd-amdhsa--gfx1201
amdhsa.version:
  - 1
  - 2
...

	.end_amdgpu_metadata
